;; amdgpu-corpus repo=ROCm/rocFFT kind=compiled arch=gfx950 opt=O3
	.text
	.amdgcn_target "amdgcn-amd-amdhsa--gfx950"
	.amdhsa_code_object_version 6
	.protected	fft_rtc_back_len1768_factors_17_13_8_wgs_136_tpt_136_halfLds_sp_ip_CI_unitstride_sbrr_R2C_dirReg ; -- Begin function fft_rtc_back_len1768_factors_17_13_8_wgs_136_tpt_136_halfLds_sp_ip_CI_unitstride_sbrr_R2C_dirReg
	.globl	fft_rtc_back_len1768_factors_17_13_8_wgs_136_tpt_136_halfLds_sp_ip_CI_unitstride_sbrr_R2C_dirReg
	.p2align	8
	.type	fft_rtc_back_len1768_factors_17_13_8_wgs_136_tpt_136_halfLds_sp_ip_CI_unitstride_sbrr_R2C_dirReg,@function
fft_rtc_back_len1768_factors_17_13_8_wgs_136_tpt_136_halfLds_sp_ip_CI_unitstride_sbrr_R2C_dirReg: ; @fft_rtc_back_len1768_factors_17_13_8_wgs_136_tpt_136_halfLds_sp_ip_CI_unitstride_sbrr_R2C_dirReg
; %bb.0:
	s_load_dwordx2 s[8:9], s[0:1], 0x50
	s_load_dwordx4 s[4:7], s[0:1], 0x0
	s_load_dwordx2 s[10:11], s[0:1], 0x18
	v_mul_u32_u24_e32 v1, 0x1e2, v0
	v_add_u32_sdwa v6, s2, v1 dst_sel:DWORD dst_unused:UNUSED_PAD src0_sel:DWORD src1_sel:WORD_1
	v_mov_b32_e32 v4, 0
	s_waitcnt lgkmcnt(0)
	v_cmp_lt_u64_e64 s[2:3], s[6:7], 2
	v_mov_b32_e32 v7, v4
	s_and_b64 vcc, exec, s[2:3]
	v_mov_b64_e32 v[2:3], 0
	s_cbranch_vccnz .LBB0_8
; %bb.1:
	s_load_dwordx2 s[2:3], s[0:1], 0x10
	s_add_u32 s12, s10, 8
	s_addc_u32 s13, s11, 0
	s_mov_b64 s[14:15], 1
	v_mov_b64_e32 v[2:3], 0
	s_waitcnt lgkmcnt(0)
	s_add_u32 s16, s2, 8
	s_addc_u32 s17, s3, 0
.LBB0_2:                                ; =>This Inner Loop Header: Depth=1
	s_load_dwordx2 s[18:19], s[16:17], 0x0
                                        ; implicit-def: $vgpr8_vgpr9
	s_waitcnt lgkmcnt(0)
	v_or_b32_e32 v5, s19, v7
	v_cmp_ne_u64_e32 vcc, 0, v[4:5]
	s_and_saveexec_b64 s[2:3], vcc
	s_xor_b64 s[20:21], exec, s[2:3]
	s_cbranch_execz .LBB0_4
; %bb.3:                                ;   in Loop: Header=BB0_2 Depth=1
	v_cvt_f32_u32_e32 v1, s18
	v_cvt_f32_u32_e32 v5, s19
	s_sub_u32 s2, 0, s18
	s_subb_u32 s3, 0, s19
	v_fmac_f32_e32 v1, 0x4f800000, v5
	v_rcp_f32_e32 v1, v1
	s_nop 0
	v_mul_f32_e32 v1, 0x5f7ffffc, v1
	v_mul_f32_e32 v5, 0x2f800000, v1
	v_trunc_f32_e32 v5, v5
	v_fmac_f32_e32 v1, 0xcf800000, v5
	v_cvt_u32_f32_e32 v5, v5
	v_cvt_u32_f32_e32 v1, v1
	v_mul_lo_u32 v8, s2, v5
	v_mul_hi_u32 v10, s2, v1
	v_mul_lo_u32 v9, s3, v1
	v_add_u32_e32 v10, v10, v8
	v_mul_lo_u32 v12, s2, v1
	v_add_u32_e32 v13, v10, v9
	v_mul_hi_u32 v8, v1, v12
	v_mul_hi_u32 v11, v1, v13
	v_mul_lo_u32 v10, v1, v13
	v_mov_b32_e32 v9, v4
	v_lshl_add_u64 v[8:9], v[8:9], 0, v[10:11]
	v_mul_hi_u32 v11, v5, v12
	v_mul_lo_u32 v12, v5, v12
	v_add_co_u32_e32 v8, vcc, v8, v12
	v_mul_hi_u32 v10, v5, v13
	s_nop 0
	v_addc_co_u32_e32 v8, vcc, v9, v11, vcc
	v_mov_b32_e32 v9, v4
	s_nop 0
	v_addc_co_u32_e32 v11, vcc, 0, v10, vcc
	v_mul_lo_u32 v10, v5, v13
	v_lshl_add_u64 v[8:9], v[8:9], 0, v[10:11]
	v_add_co_u32_e32 v1, vcc, v1, v8
	v_mul_lo_u32 v10, s2, v1
	s_nop 0
	v_addc_co_u32_e32 v5, vcc, v5, v9, vcc
	v_mul_lo_u32 v8, s2, v5
	v_mul_hi_u32 v9, s2, v1
	v_add_u32_e32 v8, v9, v8
	v_mul_lo_u32 v9, s3, v1
	v_add_u32_e32 v12, v8, v9
	v_mul_hi_u32 v14, v5, v10
	v_mul_lo_u32 v15, v5, v10
	v_mul_hi_u32 v9, v1, v12
	v_mul_lo_u32 v8, v1, v12
	v_mul_hi_u32 v10, v1, v10
	v_mov_b32_e32 v11, v4
	v_lshl_add_u64 v[8:9], v[10:11], 0, v[8:9]
	v_add_co_u32_e32 v8, vcc, v8, v15
	v_mul_hi_u32 v13, v5, v12
	s_nop 0
	v_addc_co_u32_e32 v8, vcc, v9, v14, vcc
	v_mul_lo_u32 v10, v5, v12
	s_nop 0
	v_addc_co_u32_e32 v11, vcc, 0, v13, vcc
	v_mov_b32_e32 v9, v4
	v_lshl_add_u64 v[8:9], v[8:9], 0, v[10:11]
	v_add_co_u32_e32 v1, vcc, v1, v8
	v_mul_hi_u32 v10, v6, v1
	s_nop 0
	v_addc_co_u32_e32 v5, vcc, v5, v9, vcc
	v_mad_u64_u32 v[8:9], s[2:3], v6, v5, 0
	v_mov_b32_e32 v11, v4
	v_lshl_add_u64 v[8:9], v[10:11], 0, v[8:9]
	v_mad_u64_u32 v[12:13], s[2:3], v7, v1, 0
	v_add_co_u32_e32 v1, vcc, v8, v12
	v_mad_u64_u32 v[10:11], s[2:3], v7, v5, 0
	s_nop 0
	v_addc_co_u32_e32 v8, vcc, v9, v13, vcc
	v_mov_b32_e32 v9, v4
	s_nop 0
	v_addc_co_u32_e32 v11, vcc, 0, v11, vcc
	v_lshl_add_u64 v[8:9], v[8:9], 0, v[10:11]
	v_mul_lo_u32 v1, s19, v8
	v_mul_lo_u32 v5, s18, v9
	v_mad_u64_u32 v[10:11], s[2:3], s18, v8, 0
	v_add3_u32 v1, v11, v5, v1
	v_sub_u32_e32 v5, v7, v1
	v_mov_b32_e32 v11, s19
	v_sub_co_u32_e32 v14, vcc, v6, v10
	v_lshl_add_u64 v[12:13], v[8:9], 0, 1
	s_nop 0
	v_subb_co_u32_e64 v5, s[2:3], v5, v11, vcc
	v_subrev_co_u32_e64 v10, s[2:3], s18, v14
	v_subb_co_u32_e32 v1, vcc, v7, v1, vcc
	s_nop 0
	v_subbrev_co_u32_e64 v5, s[2:3], 0, v5, s[2:3]
	v_cmp_le_u32_e64 s[2:3], s19, v5
	v_cmp_le_u32_e32 vcc, s19, v1
	s_nop 0
	v_cndmask_b32_e64 v11, 0, -1, s[2:3]
	v_cmp_le_u32_e64 s[2:3], s18, v10
	s_nop 1
	v_cndmask_b32_e64 v10, 0, -1, s[2:3]
	v_cmp_eq_u32_e64 s[2:3], s19, v5
	s_nop 1
	v_cndmask_b32_e64 v5, v11, v10, s[2:3]
	v_lshl_add_u64 v[10:11], v[8:9], 0, 2
	v_cmp_ne_u32_e64 s[2:3], 0, v5
	s_nop 1
	v_cndmask_b32_e64 v5, v13, v11, s[2:3]
	v_cndmask_b32_e64 v11, 0, -1, vcc
	v_cmp_le_u32_e32 vcc, s18, v14
	s_nop 1
	v_cndmask_b32_e64 v13, 0, -1, vcc
	v_cmp_eq_u32_e32 vcc, s19, v1
	s_nop 1
	v_cndmask_b32_e32 v1, v11, v13, vcc
	v_cmp_ne_u32_e32 vcc, 0, v1
	v_cndmask_b32_e64 v1, v12, v10, s[2:3]
	s_nop 0
	v_cndmask_b32_e32 v9, v9, v5, vcc
	v_cndmask_b32_e32 v8, v8, v1, vcc
.LBB0_4:                                ;   in Loop: Header=BB0_2 Depth=1
	s_andn2_saveexec_b64 s[2:3], s[20:21]
	s_cbranch_execz .LBB0_6
; %bb.5:                                ;   in Loop: Header=BB0_2 Depth=1
	v_cvt_f32_u32_e32 v1, s18
	s_sub_i32 s20, 0, s18
	v_rcp_iflag_f32_e32 v1, v1
	s_nop 0
	v_mul_f32_e32 v1, 0x4f7ffffe, v1
	v_cvt_u32_f32_e32 v1, v1
	v_mul_lo_u32 v5, s20, v1
	v_mul_hi_u32 v5, v1, v5
	v_add_u32_e32 v1, v1, v5
	v_mul_hi_u32 v1, v6, v1
	v_mul_lo_u32 v5, v1, s18
	v_sub_u32_e32 v5, v6, v5
	v_add_u32_e32 v8, 1, v1
	v_subrev_u32_e32 v9, s18, v5
	v_cmp_le_u32_e32 vcc, s18, v5
	s_nop 1
	v_cndmask_b32_e32 v5, v5, v9, vcc
	v_cndmask_b32_e32 v1, v1, v8, vcc
	v_add_u32_e32 v8, 1, v1
	v_cmp_le_u32_e32 vcc, s18, v5
	v_mov_b32_e32 v9, v4
	s_nop 0
	v_cndmask_b32_e32 v8, v1, v8, vcc
.LBB0_6:                                ;   in Loop: Header=BB0_2 Depth=1
	s_or_b64 exec, exec, s[2:3]
	v_mad_u64_u32 v[10:11], s[2:3], v8, s18, 0
	s_load_dwordx2 s[2:3], s[12:13], 0x0
	v_mul_lo_u32 v1, v9, s18
	v_mul_lo_u32 v5, v8, s19
	v_add3_u32 v1, v11, v5, v1
	v_sub_co_u32_e32 v5, vcc, v6, v10
	s_add_u32 s14, s14, 1
	s_nop 0
	v_subb_co_u32_e32 v1, vcc, v7, v1, vcc
	s_addc_u32 s15, s15, 0
	s_waitcnt lgkmcnt(0)
	v_mul_lo_u32 v1, s2, v1
	v_mul_lo_u32 v6, s3, v5
	v_mad_u64_u32 v[2:3], s[2:3], s2, v5, v[2:3]
	s_add_u32 s12, s12, 8
	v_add3_u32 v3, v6, v3, v1
	s_addc_u32 s13, s13, 0
	v_mov_b64_e32 v[6:7], s[6:7]
	s_add_u32 s16, s16, 8
	v_cmp_ge_u64_e32 vcc, s[14:15], v[6:7]
	s_addc_u32 s17, s17, 0
	s_cbranch_vccnz .LBB0_9
; %bb.7:                                ;   in Loop: Header=BB0_2 Depth=1
	v_mov_b64_e32 v[6:7], v[8:9]
	s_branch .LBB0_2
.LBB0_8:
	v_mov_b64_e32 v[8:9], v[6:7]
.LBB0_9:
	s_lshl_b64 s[2:3], s[6:7], 3
	s_add_u32 s2, s10, s2
	s_addc_u32 s3, s11, s3
	s_load_dwordx2 s[6:7], s[2:3], 0x0
	s_load_dwordx2 s[10:11], s[0:1], 0x20
	s_mov_b32 s2, 0x1e1e1e2
	s_waitcnt lgkmcnt(0)
	v_mul_lo_u32 v1, s6, v9
	v_mul_lo_u32 v4, s7, v8
	v_mad_u64_u32 v[2:3], s[0:1], s6, v8, v[2:3]
	v_add3_u32 v3, v4, v3, v1
	v_mul_hi_u32 v1, v0, s2
	v_mul_u32_u24_e32 v1, 0x88, v1
	v_sub_u32_e32 v42, v0, v1
	v_cmp_gt_u64_e64 s[0:1], s[10:11], v[8:9]
	v_lshl_add_u64 v[40:41], v[2:3], 3, s[8:9]
	v_lshl_add_u32 v188, v42, 3, 0
	s_and_saveexec_b64 s[2:3], s[0:1]
	s_cbranch_execz .LBB0_11
; %bb.10:
	v_mov_b32_e32 v43, 0
	v_lshl_add_u64 v[0:1], v[42:43], 3, v[40:41]
	v_add_co_u32_e32 v10, vcc, 0x1000, v0
	global_load_dwordx2 v[2:3], v[0:1], off
	global_load_dwordx2 v[4:5], v[0:1], off offset:1088
	global_load_dwordx2 v[6:7], v[0:1], off offset:2176
	;; [unrolled: 1-line block ×3, first 2 shown]
	v_addc_co_u32_e32 v11, vcc, 0, v1, vcc
	global_load_dwordx2 v[12:13], v[10:11], off offset:256
	global_load_dwordx2 v[14:15], v[10:11], off offset:1344
	;; [unrolled: 1-line block ×4, first 2 shown]
	v_add_co_u32_e32 v10, vcc, 0x2000, v0
	v_add_u32_e32 v28, 0x1800, v188
	s_nop 0
	v_addc_co_u32_e32 v11, vcc, 0, v1, vcc
	global_load_dwordx2 v[20:21], v[10:11], off offset:512
	global_load_dwordx2 v[22:23], v[10:11], off offset:1600
	;; [unrolled: 1-line block ×4, first 2 shown]
	v_add_co_u32_e32 v0, vcc, 0x3000, v0
	v_add_u32_e32 v10, 0x800, v188
	s_nop 0
	v_addc_co_u32_e32 v1, vcc, 0, v1, vcc
	global_load_dwordx2 v[0:1], v[0:1], off offset:768
	v_add_u32_e32 v11, 0x1000, v188
	v_add_u32_e32 v29, 0x2000, v188
	;; [unrolled: 1-line block ×3, first 2 shown]
	s_waitcnt vmcnt(11)
	ds_write2_b64 v188, v[2:3], v[4:5] offset1:136
	s_waitcnt vmcnt(9)
	ds_write2_b64 v10, v[6:7], v[8:9] offset0:16 offset1:152
	s_waitcnt vmcnt(7)
	ds_write2_b64 v11, v[12:13], v[14:15] offset0:32 offset1:168
	;; [unrolled: 2-line block ×5, first 2 shown]
	s_waitcnt vmcnt(0)
	ds_write_b64 v188, v[0:1] offset:13056
.LBB0_11:
	s_or_b64 exec, exec, s[2:3]
	v_add_u32_e32 v0, 0x2c00, v188
	s_waitcnt lgkmcnt(0)
	s_barrier
	ds_read2_b64 v[8:11], v188 offset1:104
	ds_read2_b64 v[12:15], v0 offset0:48 offset1:152
	ds_read_b64 v[70:71], v188 offset:13312
	v_add_u32_e32 v0, 0x400, v188
	ds_read2_b64 v[16:19], v0 offset0:80 offset1:184
	s_mov_b32 s6, 0x3f3d2fb0
	s_mov_b32 s7, 0xbf2c7751
	s_waitcnt lgkmcnt(1)
	v_pk_add_f32 v[46:47], v[70:71], v[10:11]
	v_pk_add_f32 v[48:49], v[10:11], v[70:71] neg_lo:[0,1] neg_hi:[0,1]
	v_mov_b32_e32 v7, v47
	v_mov_b32_e32 v6, v49
	s_mov_b32 s2, 0x3dbcf732
	s_mov_b32 s8, s7
	;; [unrolled: 1-line block ×3, first 2 shown]
	s_waitcnt lgkmcnt(0)
	v_pk_add_f32 v[44:45], v[14:15], v[16:17]
	v_pk_add_f32 v[50:51], v[16:17], v[14:15] neg_lo:[0,1] neg_hi:[0,1]
	s_mov_b32 s3, 0xbf7ee86f
	v_pk_mul_f32 v[76:77], v[6:7], s[8:9]
	s_mov_b32 s8, 0xbf1a4643
	v_pk_add_f32 v[4:5], v[12:13], v[18:19]
	v_pk_add_f32 v[52:53], v[18:19], v[12:13] neg_lo:[0,1] neg_hi:[0,1]
	s_mov_b32 s18, s3
	s_mov_b32 s19, s2
	v_mov_b32_e32 v82, v46
	v_mov_b32_e32 v83, v48
	;; [unrolled: 1-line block ×4, first 2 shown]
	s_mov_b32 s9, 0xbf4c4adb
	v_mov_b32_e32 v90, v44
	v_mov_b32_e32 v91, v50
	;; [unrolled: 1-line block ×4, first 2 shown]
	v_pk_fma_f32 v[78:79], v[82:83], s[6:7], v[76:77]
	v_pk_fma_f32 v[0:1], v[82:83], s[6:7], v[76:77] neg_lo:[0,0,1] neg_hi:[0,0,1]
	v_pk_mul_f32 v[84:85], v[98:99], s[18:19]
	s_mov_b32 s20, s9
	s_mov_b32 s21, s8
	v_mov_b32_e32 v92, v4
	v_mov_b32_e32 v93, v52
	;; [unrolled: 1-line block ×3, first 2 shown]
	v_pk_fma_f32 v[80:81], v[90:91], s[2:3], v[84:85]
	v_pk_fma_f32 v[2:3], v[90:91], s[2:3], v[84:85] neg_lo:[0,0,1] neg_hi:[0,0,1]
	v_pk_mul_f32 v[86:87], v[104:105], s[20:21]
	v_mov_b32_e32 v3, v81
	v_pk_fma_f32 v[88:89], v[92:93], s[8:9], v[86:87]
	v_pk_fma_f32 v[20:21], v[92:93], s[8:9], v[86:87] neg_lo:[0,0,1] neg_hi:[0,0,1]
	v_pk_add_f32 v[0:1], v[8:9], v[0:1]
	v_add_u32_e32 v22, 0x2400, v188
	v_mov_b32_e32 v21, v89
	v_pk_add_f32 v[0:1], v[2:3], v[0:1]
	v_add_u32_e32 v2, 0xc00, v188
	v_pk_add_f32 v[0:1], v[20:21], v[0:1]
	ds_read2_b64 v[20:23], v22 offset0:96 offset1:200
	ds_read2_b64 v[24:27], v2 offset0:32 offset1:136
	v_add_u32_e32 v189, 0x1000, v188
	s_mov_b32 s10, 0xbf7ba420
	v_add_u32_e32 v43, 0x2000, v188
	ds_read2_b64 v[32:35], v189 offset0:112 offset1:216
	ds_read2_b64 v[28:31], v43 offset0:16 offset1:120
	s_mov_b32 s11, 0xbe3c28d5
	s_waitcnt lgkmcnt(2)
	v_pk_add_f32 v[54:55], v[22:23], v[24:25]
	v_pk_add_f32 v[58:59], v[24:25], v[22:23] neg_lo:[0,1] neg_hi:[0,1]
	s_mov_b32 s26, s11
	s_mov_b32 s27, s10
	v_mov_b32_e32 v156, v59
	v_mov_b32_e32 v157, v55
	v_pk_add_f32 v[56:57], v[20:21], v[26:27]
	v_pk_add_f32 v[62:63], v[26:27], v[20:21] neg_lo:[0,1] neg_hi:[0,1]
	s_mov_b32 s14, 0xbf59a7d5
	s_mov_b32 s25, 0x3f06c442
	v_mov_b32_e32 v142, v54
	v_mov_b32_e32 v143, v58
	v_pk_mul_f32 v[96:97], v[156:157], s[26:27]
	v_mov_b32_e32 v160, v63
	v_mov_b32_e32 v161, v57
	s_mov_b32 s15, 0xbf06c442
	s_mov_b32 s12, s25
	;; [unrolled: 1-line block ×3, first 2 shown]
	v_pk_fma_f32 v[94:95], v[142:143], s[10:11], v[96:97]
	v_pk_fma_f32 v[2:3], v[142:143], s[10:11], v[96:97] neg_lo:[0,0,1] neg_hi:[0,0,1]
	v_pk_mul_f32 v[102:103], v[160:161], s[12:13]
	s_mov_b32 s12, 0xbe8c1d8e
	v_mov_b32_e32 v3, v95
	v_mov_b32_e32 v144, v56
	v_mov_b32_e32 v145, v62
	s_mov_b32 s24, s14
	s_mov_b32 s13, 0x3f763a35
	s_waitcnt lgkmcnt(0)
	v_pk_add_f32 v[60:61], v[30:31], v[32:33]
	v_pk_add_f32 v[66:67], v[32:33], v[30:31] neg_lo:[0,1] neg_hi:[0,1]
	v_pk_add_f32 v[0:1], v[2:3], v[0:1]
	v_pk_fma_f32 v[100:101], v[144:145], s[24:25], v[102:103]
	v_pk_fma_f32 v[2:3], v[144:145], s[24:25], v[102:103] neg_lo:[0,0,1] neg_hi:[0,0,1]
	s_mov_b32 s30, s13
	s_mov_b32 s31, s12
	v_mov_b32_e32 v164, v67
	v_mov_b32_e32 v165, v61
	;; [unrolled: 1-line block ×5, first 2 shown]
	v_pk_mul_f32 v[108:109], v[164:165], s[30:31]
	s_mov_b32 s16, 0x3ee437d1
	v_pk_add_f32 v[64:65], v[28:29], v[34:35]
	v_pk_add_f32 v[68:69], v[34:35], v[28:29] neg_lo:[0,1] neg_hi:[0,1]
	s_mov_b32 s23, 0x3f65296c
	v_pk_add_f32 v[0:1], v[2:3], v[0:1]
	v_pk_fma_f32 v[106:107], v[178:179], s[12:13], v[108:109]
	v_pk_fma_f32 v[2:3], v[178:179], s[12:13], v[108:109] neg_lo:[0,0,1] neg_hi:[0,0,1]
	s_mov_b32 s17, 0xbf65296c
	v_mov_b32_e32 v170, v69
	v_mov_b32_e32 v171, v65
	s_mov_b32 s28, s23
	s_mov_b32 s29, s16
	v_mov_b32_e32 v3, v107
	v_mov_b32_e32 v184, v64
	;; [unrolled: 1-line block ×3, first 2 shown]
	s_mov_b32 s22, s16
	v_pk_mul_f32 v[120:121], v[170:171], s[28:29]
	v_pk_add_f32 v[0:1], v[2:3], v[0:1]
	v_pk_fma_f32 v[118:119], v[184:185], s[22:23], v[120:121]
	v_pk_fma_f32 v[2:3], v[184:185], s[22:23], v[120:121] neg_lo:[0,0,1] neg_hi:[0,0,1]
	s_mov_b32 s34, s17
	s_mov_b32 s35, s16
	v_mov_b32_e32 v3, v119
	v_pk_mul_f32 v[114:115], v[6:7], s[34:35]
	v_pk_add_f32 v[0:1], v[2:3], v[0:1]
	v_pk_fma_f32 v[110:111], v[82:83], s[16:17], v[114:115]
	v_pk_fma_f32 v[2:3], v[82:83], s[16:17], v[114:115] neg_lo:[0,0,1] neg_hi:[0,0,1]
	v_pk_mul_f32 v[116:117], v[98:99], s[20:21]
	v_mov_b32_e32 v3, v111
	v_pk_fma_f32 v[112:113], v[90:91], s[8:9], v[116:117]
	v_pk_fma_f32 v[36:37], v[90:91], s[8:9], v[116:117] neg_lo:[0,0,1] neg_hi:[0,0,1]
	s_mov_b32 s20, 0x3e3c28d5
	s_mov_b32 s21, s10
	v_mov_b32_e32 v37, v113
	v_pk_add_f32 v[2:3], v[8:9], v[2:3]
	s_mov_b32 s36, s10
	s_mov_b32 s37, s20
	v_pk_mul_f32 v[126:127], v[104:105], s[20:21]
	v_pk_add_f32 v[2:3], v[36:37], v[2:3]
	v_pk_fma_f32 v[122:123], v[92:93], s[36:37], v[126:127]
	v_pk_fma_f32 v[36:37], v[92:93], s[36:37], v[126:127] neg_lo:[0,0,1] neg_hi:[0,0,1]
	v_pk_mul_f32 v[128:129], v[156:157], s[30:31]
	v_mov_b32_e32 v37, v123
	s_mov_b32 s29, 0x3f2c7751
	v_pk_add_f32 v[2:3], v[36:37], v[2:3]
	v_pk_fma_f32 v[124:125], v[142:143], s[12:13], v[128:129]
	v_pk_fma_f32 v[36:37], v[142:143], s[12:13], v[128:129] neg_lo:[0,0,1] neg_hi:[0,0,1]
	s_mov_b32 s40, s29
	s_mov_b32 s41, s6
	v_mov_b32_e32 v37, v125
	s_mov_b32 s28, s6
	v_pk_mul_f32 v[132:133], v[160:161], s[40:41]
	s_mov_b32 s20, 0x3f6eb680
	s_mov_b32 s39, 0xbeb8f4ab
	v_pk_add_f32 v[2:3], v[36:37], v[2:3]
	v_pk_fma_f32 v[130:131], v[144:145], s[28:29], v[132:133]
	v_pk_fma_f32 v[36:37], v[144:145], s[28:29], v[132:133] neg_lo:[0,0,1] neg_hi:[0,0,1]
	s_mov_b32 s21, 0x3eb8f4ab
	s_mov_b32 s42, s39
	;; [unrolled: 1-line block ×3, first 2 shown]
	v_mov_b32_e32 v37, v131
	s_mov_b32 s38, s20
	v_pk_mul_f32 v[138:139], v[164:165], s[42:43]
	v_pk_add_f32 v[2:3], v[36:37], v[2:3]
	v_pk_fma_f32 v[134:135], v[178:179], s[38:39], v[138:139]
	v_pk_fma_f32 v[36:37], v[178:179], s[38:39], v[138:139] neg_lo:[0,0,1] neg_hi:[0,0,1]
	v_pk_mul_f32 v[140:141], v[170:171], s[18:19]
	v_mov_b32_e32 v37, v135
	v_pk_add_f32 v[2:3], v[36:37], v[2:3]
	v_pk_fma_f32 v[136:137], v[184:185], s[2:3], v[140:141]
	v_pk_fma_f32 v[36:37], v[184:185], s[2:3], v[140:141] neg_lo:[0,0,1] neg_hi:[0,0,1]
	v_add_u32_e32 v190, 0x1800, v188
	v_mov_b32_e32 v37, v137
	v_pk_add_f32 v[150:151], v[36:37], v[2:3]
	ds_read2_b64 v[36:39], v190 offset0:64 offset1:168
	s_mov_b32 s42, s21
	s_mov_b32 s44, s15
	;; [unrolled: 1-line block ×3, first 2 shown]
	v_pk_mul_f32 v[154:155], v[98:99], s[26:27]
	s_waitcnt lgkmcnt(0)
	v_pk_add_f32 v[72:73], v[38:39], v[36:37]
	v_pk_add_f32 v[74:75], v[36:37], v[38:39] neg_lo:[0,1] neg_hi:[0,1]
	v_mov_b32_e32 v175, v73
	v_mov_b32_e32 v174, v75
	;; [unrolled: 1-line block ×4, first 2 shown]
	v_pk_mul_f32 v[182:183], v[174:175], s[42:43]
	v_pk_mul_f32 v[148:149], v[174:175], s[44:45]
	v_pk_fma_f32 v[180:181], v[186:187], s[20:21], v[182:183]
	v_pk_fma_f32 v[2:3], v[186:187], s[20:21], v[182:183] neg_lo:[0,0,1] neg_hi:[0,0,1]
	v_pk_fma_f32 v[146:147], v[186:187], s[14:15], v[148:149]
	v_pk_fma_f32 v[152:153], v[186:187], s[14:15], v[148:149] neg_lo:[0,0,1] neg_hi:[0,0,1]
	v_mov_b32_e32 v3, v181
	v_mov_b32_e32 v153, v147
	v_pk_add_f32 v[2:3], v[2:3], v[0:1]
	v_pk_add_f32 v[0:1], v[152:153], v[150:151]
	v_pk_mul_f32 v[152:153], v[6:7], s[18:19]
	v_pk_fma_f32 v[98:99], v[90:91], s[10:11], v[154:155]
	v_pk_fma_f32 v[150:151], v[82:83], s[2:3], v[152:153]
	v_pk_fma_f32 v[6:7], v[82:83], s[2:3], v[152:153] neg_lo:[0,0,1] neg_hi:[0,0,1]
	v_pk_fma_f32 v[158:159], v[90:91], s[10:11], v[154:155] neg_lo:[0,0,1] neg_hi:[0,0,1]
	v_mov_b32_e32 v7, v151
	v_pk_add_f32 v[6:7], v[8:9], v[6:7]
	v_mov_b32_e32 v159, v99
	v_pk_add_f32 v[6:7], v[158:159], v[6:7]
	v_pk_mul_f32 v[158:159], v[104:105], s[30:31]
	s_mov_b32 s27, 0x3f4c4adb
	v_pk_fma_f32 v[104:105], v[92:93], s[12:13], v[158:159]
	v_pk_fma_f32 v[162:163], v[92:93], s[12:13], v[158:159] neg_lo:[0,0,1] neg_hi:[0,0,1]
	s_mov_b32 s18, s27
	v_mov_b32_e32 v163, v105
	v_pk_add_f32 v[6:7], v[162:163], v[6:7]
	v_pk_mul_f32 v[162:163], v[156:157], s[42:43]
	s_mov_b32 s19, s8
	v_pk_fma_f32 v[156:157], v[142:143], s[20:21], v[162:163]
	v_pk_fma_f32 v[166:167], v[142:143], s[20:21], v[162:163] neg_lo:[0,0,1] neg_hi:[0,0,1]
	s_mov_b32 s26, s8
	v_mov_b32_e32 v167, v157
	v_pk_add_f32 v[6:7], v[166:167], v[6:7]
	v_pk_mul_f32 v[166:167], v[160:161], s[34:35]
	s_nop 0
	v_pk_fma_f32 v[160:161], v[144:145], s[16:17], v[166:167]
	v_pk_fma_f32 v[168:169], v[144:145], s[16:17], v[166:167] neg_lo:[0,0,1] neg_hi:[0,0,1]
	s_barrier
	v_mov_b32_e32 v169, v161
	v_pk_add_f32 v[6:7], v[168:169], v[6:7]
	v_pk_mul_f32 v[168:169], v[164:165], s[44:45]
	s_nop 0
	v_pk_fma_f32 v[164:165], v[178:179], s[14:15], v[168:169]
	v_pk_fma_f32 v[172:173], v[178:179], s[14:15], v[168:169] neg_lo:[0,0,1] neg_hi:[0,0,1]
	s_nop 0
	v_mov_b32_e32 v173, v165
	v_pk_add_f32 v[6:7], v[172:173], v[6:7]
	v_pk_mul_f32 v[172:173], v[170:171], s[18:19]
	s_movk_i32 s18, 0x68
	v_pk_fma_f32 v[170:171], v[184:185], s[26:27], v[172:173]
	v_pk_fma_f32 v[176:177], v[184:185], s[26:27], v[172:173] neg_lo:[0,0,1] neg_hi:[0,0,1]
	v_cmp_gt_u32_e32 vcc, s18, v42
	v_mov_b32_e32 v177, v171
	v_pk_add_f32 v[6:7], v[176:177], v[6:7]
	v_pk_mul_f32 v[176:177], v[174:175], s[40:41]
	s_nop 0
	v_pk_fma_f32 v[174:175], v[186:187], s[28:29], v[176:177]
	v_pk_fma_f32 v[192:193], v[186:187], s[28:29], v[176:177] neg_lo:[0,0,1] neg_hi:[0,0,1]
	s_nop 0
	v_mov_b32_e32 v193, v175
	v_pk_add_f32 v[6:7], v[192:193], v[6:7]
	s_and_saveexec_b64 s[18:19], vcc
	s_cbranch_execz .LBB0_13
; %bb.12:
	v_pk_mul_f32 v[204:205], v[82:83], s[6:7]
	v_pk_mul_f32 v[206:207], v[90:91], s[2:3]
	v_pk_add_f32 v[76:77], v[76:77], v[204:205] neg_lo:[0,1] neg_hi:[0,1]
	v_pk_mul_f32 v[208:209], v[92:93], s[8:9]
	v_mov_b32_e32 v79, v77
	v_pk_add_f32 v[76:77], v[8:9], v[78:79]
	v_pk_add_f32 v[78:79], v[84:85], v[206:207] neg_lo:[0,1] neg_hi:[0,1]
	v_pk_mul_f32 v[210:211], v[142:143], s[10:11]
	v_mov_b32_e32 v81, v79
	v_pk_add_f32 v[78:79], v[86:87], v[208:209] neg_lo:[0,1] neg_hi:[0,1]
	v_pk_mul_f32 v[212:213], v[144:145], s[24:25]
	v_mov_b32_e32 v89, v79
	;; [unrolled: 3-line block ×5, first 2 shown]
	v_pk_add_f32 v[78:79], v[120:121], v[216:217] neg_lo:[0,1] neg_hi:[0,1]
	v_pk_mul_f32 v[192:193], v[82:83], s[2:3]
	v_pk_mul_f32 v[82:83], v[82:83], s[16:17]
	v_mov_b32_e32 v119, v79
	v_pk_add_f32 v[78:79], v[182:183], v[218:219] neg_lo:[0,1] neg_hi:[0,1]
	v_pk_mul_f32 v[194:195], v[90:91], s[10:11]
	v_pk_mul_f32 v[90:91], v[90:91], s[8:9]
	v_mov_b32_e32 v181, v79
	v_pk_add_f32 v[78:79], v[114:115], v[82:83] neg_lo:[0,1] neg_hi:[0,1]
	v_pk_mul_f32 v[196:197], v[92:93], s[12:13]
	v_pk_mul_f32 v[92:93], v[92:93], s[36:37]
	v_pk_add_f32 v[76:77], v[80:81], v[76:77]
	v_mov_b32_e32 v111, v79
	v_pk_add_f32 v[80:81], v[116:117], v[90:91] neg_lo:[0,1] neg_hi:[0,1]
	v_pk_mul_f32 v[220:221], v[142:143], s[12:13]
	v_pk_add_f32 v[78:79], v[8:9], v[110:111]
	v_mov_b32_e32 v113, v81
	v_pk_add_f32 v[80:81], v[126:127], v[92:93] neg_lo:[0,1] neg_hi:[0,1]
	v_pk_mul_f32 v[200:201], v[144:145], s[16:17]
	v_pk_mul_f32 v[144:145], v[144:145], s[28:29]
	v_pk_add_f32 v[78:79], v[112:113], v[78:79]
	v_mov_b32_e32 v123, v81
	v_pk_add_f32 v[80:81], v[128:129], v[220:221] neg_lo:[0,1] neg_hi:[0,1]
	v_pk_mul_f32 v[202:203], v[178:179], s[14:15]
	v_pk_mul_f32 v[178:179], v[178:179], s[38:39]
	v_pk_add_f32 v[76:77], v[88:89], v[76:77]
	v_pk_add_f32 v[78:79], v[122:123], v[78:79]
	v_mov_b32_e32 v125, v81
	v_pk_add_f32 v[80:81], v[132:133], v[144:145] neg_lo:[0,1] neg_hi:[0,1]
	v_pk_mul_f32 v[222:223], v[184:185], s[2:3]
	v_pk_add_f32 v[76:77], v[94:95], v[76:77]
	v_pk_add_f32 v[78:79], v[124:125], v[78:79]
	v_mov_b32_e32 v131, v81
	v_pk_add_f32 v[80:81], v[138:139], v[178:179] neg_lo:[0,1] neg_hi:[0,1]
	;; [unrolled: 5-line block ×3, first 2 shown]
	v_pk_add_f32 v[76:77], v[106:107], v[76:77]
	v_pk_add_f32 v[78:79], v[134:135], v[78:79]
	v_mov_b32_e32 v137, v81
	v_pk_add_f32 v[80:81], v[148:149], v[224:225] neg_lo:[0,1] neg_hi:[0,1]
	v_pk_add_f32 v[76:77], v[118:119], v[76:77]
	v_pk_add_f32 v[78:79], v[136:137], v[78:79]
	v_mov_b32_e32 v147, v81
	v_pk_mul_f32 v[198:199], v[142:143], s[20:21]
	v_lshl_add_u32 v142, v42, 7, v188
	v_pk_add_f32 v[76:77], v[180:181], v[76:77]
	v_pk_add_f32 v[78:79], v[146:147], v[78:79]
	ds_write2_b64 v142, v[76:77], v[78:79] offset0:2 offset1:3
	v_pk_add_f32 v[76:77], v[152:153], v[192:193] neg_lo:[0,1] neg_hi:[0,1]
	v_pk_add_f32 v[78:79], v[154:155], v[194:195] neg_lo:[0,1] neg_hi:[0,1]
	v_mov_b32_e32 v151, v77
	v_pk_add_f32 v[76:77], v[8:9], v[150:151]
	v_mov_b32_e32 v99, v79
	v_pk_add_f32 v[78:79], v[158:159], v[196:197] neg_lo:[0,1] neg_hi:[0,1]
	v_pk_add_f32 v[76:77], v[98:99], v[76:77]
	v_mov_b32_e32 v105, v79
	v_pk_add_f32 v[78:79], v[162:163], v[198:199] neg_lo:[0,1] neg_hi:[0,1]
	v_pk_add_f32 v[76:77], v[104:105], v[76:77]
	v_mov_b32_e32 v157, v79
	v_pk_add_f32 v[78:79], v[166:167], v[200:201] neg_lo:[0,1] neg_hi:[0,1]
	v_pk_mul_f32 v[184:185], v[184:185], s[26:27]
	v_pk_add_f32 v[76:77], v[156:157], v[76:77]
	v_mov_b32_e32 v161, v79
	v_pk_add_f32 v[78:79], v[168:169], v[202:203] neg_lo:[0,1] neg_hi:[0,1]
	v_pk_mul_f32 v[186:187], v[186:187], s[28:29]
	v_pk_add_f32 v[76:77], v[160:161], v[76:77]
	v_mov_b32_e32 v165, v79
	v_pk_add_f32 v[78:79], v[172:173], v[184:185] neg_lo:[0,1] neg_hi:[0,1]
	s_mov_b32 s22, 0xbf763a35
	v_pk_add_f32 v[76:77], v[164:165], v[76:77]
	v_mov_b32_e32 v171, v79
	v_pk_add_f32 v[78:79], v[176:177], v[186:187] neg_lo:[0,1] neg_hi:[0,1]
	v_pk_add_f32 v[76:77], v[170:171], v[76:77]
	v_mov_b32_e32 v175, v79
	v_pk_mul_f32 v[78:79], v[48:49], s[22:23] op_sel_hi:[1,0]
	v_pk_add_f32 v[108:109], v[174:175], v[76:77]
	s_mov_b32 s40, s25
	v_pk_fma_f32 v[76:77], v[46:47], s[12:13], v[78:79] op_sel:[0,0,1] op_sel_hi:[1,0,0]
	v_pk_fma_f32 v[78:79], v[46:47], s[12:13], v[78:79] op_sel:[0,0,1] op_sel_hi:[1,0,0] neg_lo:[0,0,1] neg_hi:[0,0,1]
	v_pk_mul_f32 v[82:83], v[50:51], s[40:41] op_sel_hi:[1,0]
	v_mov_b32_e32 v80, v76
	v_mov_b32_e32 v81, v79
	s_mov_b32 s40, s29
	v_pk_add_f32 v[84:85], v[8:9], v[80:81]
	v_pk_fma_f32 v[80:81], v[44:45], s[14:15], v[82:83] op_sel:[0,0,1] op_sel_hi:[1,0,0]
	v_pk_fma_f32 v[82:83], v[44:45], s[14:15], v[82:83] op_sel:[0,0,1] op_sel_hi:[1,0,0] neg_lo:[0,0,1] neg_hi:[0,0,1]
	v_pk_mul_f32 v[86:87], v[52:53], s[40:41] op_sel_hi:[1,0]
	v_mov_b32_e32 v88, v80
	v_mov_b32_e32 v89, v83
	s_mov_b32 s38, s17
	v_pk_add_f32 v[88:89], v[88:89], v[84:85]
	;; [unrolled: 7-line block ×3, first 2 shown]
	v_pk_fma_f32 v[88:89], v[54:55], s[16:17], v[90:91] op_sel:[0,0,1] op_sel_hi:[1,0,0]
	v_pk_fma_f32 v[90:91], v[54:55], s[16:17], v[90:91] op_sel:[0,0,1] op_sel_hi:[1,0,0] neg_lo:[0,0,1] neg_hi:[0,0,1]
	v_pk_mul_f32 v[94:95], v[62:63], s[28:29] op_sel_hi:[1,0]
	v_mov_b32_e32 v96, v88
	v_mov_b32_e32 v97, v91
	v_pk_mul_f32 v[230:231], v[52:53], s[38:39] op_sel_hi:[1,0]
	s_mov_b32 s38, 0x3f7ee86f
	v_pk_add_f32 v[96:97], v[96:97], v[92:93]
	v_pk_fma_f32 v[92:93], v[56:57], s[10:11], v[94:95] op_sel:[0,0,1] op_sel_hi:[1,0,0]
	v_pk_fma_f32 v[94:95], v[56:57], s[10:11], v[94:95] op_sel:[0,0,1] op_sel_hi:[1,0,0] neg_lo:[0,0,1] neg_hi:[0,0,1]
	v_pk_mul_f32 v[98:99], v[66:67], s[38:39] op_sel_hi:[1,0]
	v_mov_b32_e32 v100, v92
	v_mov_b32_e32 v101, v95
	s_mov_b32 s30, s39
	v_pk_add_f32 v[100:101], v[100:101], v[96:97]
	v_pk_fma_f32 v[96:97], v[60:61], s[2:3], v[98:99] op_sel:[0,0,1] op_sel_hi:[1,0,0]
	v_pk_fma_f32 v[98:99], v[60:61], s[2:3], v[98:99] op_sel:[0,0,1] op_sel_hi:[1,0,0] neg_lo:[0,0,1] neg_hi:[0,0,1]
	v_pk_mul_f32 v[102:103], v[68:69], s[30:31] op_sel_hi:[1,0]
	v_mov_b32_e32 v104, v96
	v_mov_b32_e32 v105, v99
	;; [unrolled: 7-line block ×3, first 2 shown]
	v_pk_add_f32 v[110:111], v[110:111], v[104:105]
	v_pk_fma_f32 v[104:105], v[72:73], s[8:9], v[106:107] op_sel:[0,0,1] op_sel_hi:[1,0,0]
	v_pk_fma_f32 v[106:107], v[72:73], s[8:9], v[106:107] op_sel:[0,0,1] op_sel_hi:[1,0,0] neg_lo:[0,0,1] neg_hi:[0,0,1]
	v_mov_b32_e32 v112, v104
	v_mov_b32_e32 v113, v107
	v_pk_add_f32 v[110:111], v[112:113], v[110:111]
	ds_write2_b64 v142, v[108:109], v[110:111] offset0:4 offset1:5
	v_pk_mul_f32 v[108:109], v[48:49], s[24:25] op_sel_hi:[1,0]
	s_mov_b32 s42, s13
	v_pk_mul_f32 v[110:111], v[50:51], s[42:43] op_sel_hi:[1,0]
	v_pk_fma_f32 v[124:125], v[46:47], s[8:9], v[108:109] op_sel:[0,0,1] op_sel_hi:[1,0,0]
	v_pk_fma_f32 v[108:109], v[46:47], s[8:9], v[108:109] op_sel:[0,0,1] op_sel_hi:[1,0,0] neg_lo:[0,0,1] neg_hi:[0,0,1]
	v_mov_b32_e32 v126, v124
	v_mov_b32_e32 v127, v109
	v_pk_fma_f32 v[128:129], v[44:45], s[12:13], v[110:111] op_sel:[0,0,1] op_sel_hi:[1,0,0]
	v_pk_fma_f32 v[110:111], v[44:45], s[12:13], v[110:111] op_sel:[0,0,1] op_sel_hi:[1,0,0] neg_lo:[0,0,1] neg_hi:[0,0,1]
	v_pk_mul_f32 v[112:113], v[52:53], s[30:31] op_sel_hi:[1,0]
	v_pk_add_f32 v[126:127], v[8:9], v[126:127]
	v_mov_b32_e32 v130, v128
	v_mov_b32_e32 v131, v111
	s_mov_b32 s26, s15
	v_pk_add_f32 v[126:127], v[130:131], v[126:127]
	v_pk_fma_f32 v[130:131], v[4:5], s[20:21], v[112:113] op_sel:[0,0,1] op_sel_hi:[1,0,0]
	v_pk_fma_f32 v[112:113], v[4:5], s[20:21], v[112:113] op_sel:[0,0,1] op_sel_hi:[1,0,0] neg_lo:[0,0,1] neg_hi:[0,0,1]
	v_pk_mul_f32 v[114:115], v[58:59], s[26:27] op_sel_hi:[1,0]
	v_mov_b32_e32 v132, v130
	v_mov_b32_e32 v133, v113
	v_pk_add_f32 v[126:127], v[132:133], v[126:127]
	v_pk_fma_f32 v[132:133], v[54:55], s[14:15], v[114:115] op_sel:[0,0,1] op_sel_hi:[1,0,0]
	v_pk_fma_f32 v[114:115], v[54:55], s[14:15], v[114:115] op_sel:[0,0,1] op_sel_hi:[1,0,0] neg_lo:[0,0,1] neg_hi:[0,0,1]
	v_pk_mul_f32 v[116:117], v[62:63], s[38:39] op_sel_hi:[1,0]
	v_mov_b32_e32 v134, v132
	v_mov_b32_e32 v135, v115
	s_mov_b32 s36, s7
	v_pk_add_f32 v[126:127], v[134:135], v[126:127]
	v_pk_fma_f32 v[134:135], v[56:57], s[2:3], v[116:117] op_sel:[0,0,1] op_sel_hi:[1,0,0]
	v_pk_fma_f32 v[116:117], v[56:57], s[2:3], v[116:117] op_sel:[0,0,1] op_sel_hi:[1,0,0] neg_lo:[0,0,1] neg_hi:[0,0,1]
	v_pk_mul_f32 v[118:119], v[66:67], s[36:37] op_sel_hi:[1,0]
	v_mov_b32_e32 v136, v134
	v_mov_b32_e32 v137, v117
	v_pk_add_f32 v[126:127], v[136:137], v[126:127]
	v_pk_fma_f32 v[136:137], v[60:61], s[6:7], v[118:119] op_sel:[0,0,1] op_sel_hi:[1,0,0]
	v_pk_fma_f32 v[118:119], v[60:61], s[6:7], v[118:119] op_sel:[0,0,1] op_sel_hi:[1,0,0] neg_lo:[0,0,1] neg_hi:[0,0,1]
	v_pk_mul_f32 v[120:121], v[68:69], s[28:29] op_sel_hi:[1,0]
	v_mov_b32_e32 v138, v136
	v_mov_b32_e32 v139, v119
	v_pk_mul_f32 v[228:229], v[50:51], s[36:37] op_sel_hi:[1,0]
	s_mov_b32 s36, s23
	v_pk_add_f32 v[126:127], v[138:139], v[126:127]
	v_pk_fma_f32 v[138:139], v[64:65], s[10:11], v[120:121] op_sel:[0,0,1] op_sel_hi:[1,0,0]
	v_pk_fma_f32 v[120:121], v[64:65], s[10:11], v[120:121] op_sel:[0,0,1] op_sel_hi:[1,0,0] neg_lo:[0,0,1] neg_hi:[0,0,1]
	v_pk_mul_f32 v[122:123], v[74:75], s[36:37] op_sel_hi:[1,0]
	v_mov_b32_e32 v140, v138
	v_mov_b32_e32 v141, v121
	v_pk_add_f32 v[126:127], v[140:141], v[126:127]
	v_pk_fma_f32 v[140:141], v[72:73], s[16:17], v[122:123] op_sel:[0,0,1] op_sel_hi:[1,0,0]
	v_pk_fma_f32 v[122:123], v[72:73], s[16:17], v[122:123] op_sel:[0,0,1] op_sel_hi:[1,0,0] neg_lo:[0,0,1] neg_hi:[0,0,1]
	v_mov_b32_e32 v144, v140
	v_mov_b32_e32 v145, v123
	v_pk_add_f32 v[126:127], v[144:145], v[126:127]
	v_pk_mul_f32 v[144:145], v[48:49], s[26:27] op_sel_hi:[1,0]
	v_pk_add_f32 v[10:11], v[8:9], v[10:11]
	v_pk_mul_f32 v[146:147], v[50:51], s[36:37] op_sel_hi:[1,0]
	v_pk_fma_f32 v[160:161], v[46:47], s[14:15], v[144:145] op_sel:[0,0,1] op_sel_hi:[1,0,0]
	v_pk_fma_f32 v[144:145], v[46:47], s[14:15], v[144:145] op_sel:[0,0,1] op_sel_hi:[1,0,0] neg_lo:[0,0,1] neg_hi:[0,0,1]
	s_mov_b32 s34, s3
	v_pk_add_f32 v[10:11], v[10:11], v[16:17]
	v_mov_b32_e32 v162, v160
	v_mov_b32_e32 v163, v145
	v_pk_fma_f32 v[164:165], v[44:45], s[16:17], v[146:147] op_sel:[0,0,1] op_sel_hi:[1,0,0]
	v_pk_fma_f32 v[146:147], v[44:45], s[16:17], v[146:147] op_sel:[0,0,1] op_sel_hi:[1,0,0] neg_lo:[0,0,1] neg_hi:[0,0,1]
	v_pk_add_f32 v[10:11], v[10:11], v[18:19]
	v_pk_mul_f32 v[148:149], v[52:53], s[34:35] op_sel_hi:[1,0]
	v_pk_add_f32 v[162:163], v[8:9], v[162:163]
	v_mov_b32_e32 v166, v164
	v_mov_b32_e32 v167, v147
	v_pk_mul_f32 v[232:233], v[58:59], s[34:35] op_sel_hi:[1,0]
	v_pk_add_f32 v[10:11], v[10:11], v[24:25]
	s_mov_b32 s34, s27
	v_pk_add_f32 v[162:163], v[166:167], v[162:163]
	v_pk_fma_f32 v[166:167], v[4:5], s[2:3], v[148:149] op_sel:[0,0,1] op_sel_hi:[1,0,0]
	v_pk_fma_f32 v[148:149], v[4:5], s[2:3], v[148:149] op_sel:[0,0,1] op_sel_hi:[1,0,0] neg_lo:[0,0,1] neg_hi:[0,0,1]
	v_pk_add_f32 v[10:11], v[10:11], v[26:27]
	v_pk_mul_f32 v[150:151], v[58:59], s[34:35] op_sel_hi:[1,0]
	v_mov_b32_e32 v168, v166
	v_mov_b32_e32 v169, v149
	v_pk_add_f32 v[10:11], v[10:11], v[32:33]
	v_pk_add_f32 v[162:163], v[168:169], v[162:163]
	v_pk_fma_f32 v[168:169], v[54:55], s[8:9], v[150:151] op_sel:[0,0,1] op_sel_hi:[1,0,0]
	v_pk_fma_f32 v[150:151], v[54:55], s[8:9], v[150:151] op_sel:[0,0,1] op_sel_hi:[1,0,0] neg_lo:[0,0,1] neg_hi:[0,0,1]
	v_pk_add_f32 v[10:11], v[10:11], v[34:35]
	v_pk_mul_f32 v[152:153], v[62:63], s[30:31] op_sel_hi:[1,0]
	v_mov_b32_e32 v170, v168
	v_mov_b32_e32 v171, v151
	v_pk_add_f32 v[10:11], v[10:11], v[36:37]
	;; [unrolled: 8-line block ×5, first 2 shown]
	v_pk_add_f32 v[162:163], v[176:177], v[162:163]
	v_pk_fma_f32 v[176:177], v[72:73], s[12:13], v[158:159] op_sel:[0,0,1] op_sel_hi:[1,0,0]
	v_pk_fma_f32 v[158:159], v[72:73], s[12:13], v[158:159] op_sel:[0,0,1] op_sel_hi:[1,0,0] neg_lo:[0,0,1] neg_hi:[0,0,1]
	v_pk_mul_f32 v[226:227], v[48:49], s[30:31] op_sel_hi:[1,0]
	v_pk_add_f32 v[10:11], v[10:11], v[14:15]
	v_mov_b32_e32 v178, v176
	v_mov_b32_e32 v179, v159
	v_pk_mul_f32 v[240:241], v[74:75], s[28:29] op_sel_hi:[1,0]
	v_pk_add_f32 v[242:243], v[10:11], v[70:71]
	v_pk_fma_f32 v[10:11], v[46:47], s[20:21], v[226:227] op_sel:[0,0,1] op_sel_hi:[1,0,0]
	v_pk_fma_f32 v[12:13], v[46:47], s[20:21], v[226:227] op_sel:[0,0,1] op_sel_hi:[1,0,0] neg_lo:[0,0,1] neg_hi:[0,0,1]
	v_pk_add_f32 v[162:163], v[178:179], v[162:163]
	v_pk_mul_f32 v[48:49], v[48:49], s[28:29] op_sel_hi:[1,0]
	s_mov_b32 s28, s21
	v_mov_b32_e32 v14, v10
	v_mov_b32_e32 v15, v13
	ds_write2_b64 v142, v[126:127], v[162:163] offset0:6 offset1:7
	v_pk_mul_f32 v[50:51], v[50:51], s[28:29] op_sel_hi:[1,0]
	v_pk_fma_f32 v[126:127], v[46:47], s[10:11], v[48:49] op_sel:[0,0,1] op_sel_hi:[1,0,0]
	v_pk_fma_f32 v[46:47], v[46:47], s[10:11], v[48:49] op_sel:[0,0,1] op_sel_hi:[1,0,0] neg_lo:[0,0,1] neg_hi:[0,0,1]
	v_pk_add_f32 v[18:19], v[8:9], v[14:15]
	v_pk_fma_f32 v[14:15], v[44:45], s[6:7], v[228:229] op_sel:[0,0,1] op_sel_hi:[1,0,0]
	v_pk_fma_f32 v[16:17], v[44:45], s[6:7], v[228:229] op_sel:[0,0,1] op_sel_hi:[1,0,0] neg_lo:[0,0,1] neg_hi:[0,0,1]
	v_mov_b32_e32 v48, v126
	v_mov_b32_e32 v49, v47
	v_pk_fma_f32 v[162:163], v[44:45], s[20:21], v[50:51] op_sel:[0,0,1] op_sel_hi:[1,0,0]
	v_pk_fma_f32 v[44:45], v[44:45], s[20:21], v[50:51] op_sel:[0,0,1] op_sel_hi:[1,0,0] neg_lo:[0,0,1] neg_hi:[0,0,1]
	v_mov_b32_e32 v20, v14
	v_mov_b32_e32 v21, v17
	v_pk_mul_f32 v[52:53], v[52:53], s[26:27] op_sel_hi:[1,0]
	v_pk_add_f32 v[48:49], v[8:9], v[48:49]
	v_mov_b32_e32 v50, v162
	v_mov_b32_e32 v51, v45
	v_pk_add_f32 v[22:23], v[20:21], v[18:19]
	v_pk_fma_f32 v[18:19], v[4:5], s[16:17], v[230:231] op_sel:[0,0,1] op_sel_hi:[1,0,0]
	v_pk_fma_f32 v[20:21], v[4:5], s[16:17], v[230:231] op_sel:[0,0,1] op_sel_hi:[1,0,0] neg_lo:[0,0,1] neg_hi:[0,0,1]
	v_pk_add_f32 v[48:49], v[50:51], v[48:49]
	v_pk_fma_f32 v[50:51], v[4:5], s[14:15], v[52:53] op_sel:[0,0,1] op_sel_hi:[1,0,0]
	v_pk_fma_f32 v[4:5], v[4:5], s[14:15], v[52:53] op_sel:[0,0,1] op_sel_hi:[1,0,0] neg_lo:[0,0,1] neg_hi:[0,0,1]
	v_mov_b32_e32 v24, v18
	v_mov_b32_e32 v25, v21
	v_pk_mul_f32 v[58:59], v[58:59], s[40:41] op_sel_hi:[1,0]
	v_mov_b32_e32 v52, v50
	v_mov_b32_e32 v53, v5
	v_pk_add_f32 v[26:27], v[24:25], v[22:23]
	v_pk_fma_f32 v[22:23], v[54:55], s[2:3], v[232:233] op_sel:[0,0,1] op_sel_hi:[1,0,0]
	v_pk_fma_f32 v[24:25], v[54:55], s[2:3], v[232:233] op_sel:[0,0,1] op_sel_hi:[1,0,0] neg_lo:[0,0,1] neg_hi:[0,0,1]
	v_pk_add_f32 v[48:49], v[52:53], v[48:49]
	v_pk_fma_f32 v[52:53], v[54:55], s[6:7], v[58:59] op_sel:[0,0,1] op_sel_hi:[1,0,0]
	v_pk_fma_f32 v[54:55], v[54:55], s[6:7], v[58:59] op_sel:[0,0,1] op_sel_hi:[1,0,0] neg_lo:[0,0,1] neg_hi:[0,0,1]
	v_pk_mul_f32 v[234:235], v[62:63], s[22:23] op_sel_hi:[1,0]
	v_mov_b32_e32 v28, v22
	v_mov_b32_e32 v29, v25
	v_pk_mul_f32 v[62:63], v[62:63], s[24:25] op_sel_hi:[1,0]
	v_mov_b32_e32 v58, v52
	v_mov_b32_e32 v59, v55
	v_pk_add_f32 v[30:31], v[28:29], v[26:27]
	v_pk_fma_f32 v[26:27], v[56:57], s[12:13], v[234:235] op_sel:[0,0,1] op_sel_hi:[1,0,0]
	v_pk_fma_f32 v[28:29], v[56:57], s[12:13], v[234:235] op_sel:[0,0,1] op_sel_hi:[1,0,0] neg_lo:[0,0,1] neg_hi:[0,0,1]
	v_pk_add_f32 v[48:49], v[58:59], v[48:49]
	v_pk_fma_f32 v[58:59], v[56:57], s[8:9], v[62:63] op_sel:[0,0,1] op_sel_hi:[1,0,0]
	v_pk_fma_f32 v[56:57], v[56:57], s[8:9], v[62:63] op_sel:[0,0,1] op_sel_hi:[1,0,0] neg_lo:[0,0,1] neg_hi:[0,0,1]
	v_mov_b32_e32 v47, v127
	v_pk_mul_f32 v[236:237], v[66:67], s[24:25] op_sel_hi:[1,0]
	v_mov_b32_e32 v32, v26
	v_mov_b32_e32 v33, v29
	v_pk_mul_f32 v[66:67], v[66:67], s[36:37] op_sel_hi:[1,0]
	v_mov_b32_e32 v62, v58
	v_mov_b32_e32 v63, v57
	v_pk_add_f32 v[46:47], v[8:9], v[46:47]
	v_mov_b32_e32 v45, v163
	v_pk_add_f32 v[34:35], v[32:33], v[30:31]
	v_pk_fma_f32 v[30:31], v[60:61], s[8:9], v[236:237] op_sel:[0,0,1] op_sel_hi:[1,0,0]
	v_pk_fma_f32 v[32:33], v[60:61], s[8:9], v[236:237] op_sel:[0,0,1] op_sel_hi:[1,0,0] neg_lo:[0,0,1] neg_hi:[0,0,1]
	v_pk_add_f32 v[48:49], v[62:63], v[48:49]
	v_pk_fma_f32 v[62:63], v[60:61], s[16:17], v[66:67] op_sel:[0,0,1] op_sel_hi:[1,0,0]
	v_pk_fma_f32 v[60:61], v[60:61], s[16:17], v[66:67] op_sel:[0,0,1] op_sel_hi:[1,0,0] neg_lo:[0,0,1] neg_hi:[0,0,1]
	v_pk_add_f32 v[44:45], v[44:45], v[46:47]
	v_mov_b32_e32 v5, v51
	v_pk_mul_f32 v[238:239], v[68:69], s[26:27] op_sel_hi:[1,0]
	v_mov_b32_e32 v36, v30
	v_mov_b32_e32 v37, v33
	v_pk_mul_f32 v[68:69], v[68:69], s[22:23] op_sel_hi:[1,0]
	v_mov_b32_e32 v66, v62
	v_mov_b32_e32 v67, v61
	v_pk_add_f32 v[4:5], v[4:5], v[44:45]
	v_mov_b32_e32 v55, v53
	v_pk_add_f32 v[38:39], v[36:37], v[34:35]
	v_pk_fma_f32 v[34:35], v[64:65], s[14:15], v[238:239] op_sel:[0,0,1] op_sel_hi:[1,0,0]
	v_pk_fma_f32 v[36:37], v[64:65], s[14:15], v[238:239] op_sel:[0,0,1] op_sel_hi:[1,0,0] neg_lo:[0,0,1] neg_hi:[0,0,1]
	v_pk_add_f32 v[48:49], v[66:67], v[48:49]
	v_pk_fma_f32 v[66:67], v[64:65], s[12:13], v[68:69] op_sel:[0,0,1] op_sel_hi:[1,0,0]
	v_pk_fma_f32 v[64:65], v[64:65], s[12:13], v[68:69] op_sel:[0,0,1] op_sel_hi:[1,0,0] neg_lo:[0,0,1] neg_hi:[0,0,1]
	v_pk_add_f32 v[4:5], v[54:55], v[4:5]
	v_mov_b32_e32 v57, v59
	v_mov_b32_e32 v70, v34
	;; [unrolled: 1-line block ×3, first 2 shown]
	v_pk_mul_f32 v[74:75], v[74:75], s[38:39] op_sel_hi:[1,0]
	v_mov_b32_e32 v68, v66
	v_mov_b32_e32 v69, v65
	v_pk_add_f32 v[4:5], v[56:57], v[4:5]
	v_mov_b32_e32 v61, v63
	v_pk_add_f32 v[226:227], v[70:71], v[38:39]
	v_pk_fma_f32 v[38:39], v[72:73], s[10:11], v[240:241] op_sel:[0,0,1] op_sel_hi:[1,0,0]
	v_pk_fma_f32 v[70:71], v[72:73], s[10:11], v[240:241] op_sel:[0,0,1] op_sel_hi:[1,0,0] neg_lo:[0,0,1] neg_hi:[0,0,1]
	v_pk_add_f32 v[48:49], v[68:69], v[48:49]
	v_pk_fma_f32 v[68:69], v[72:73], s[2:3], v[74:75] op_sel:[0,0,1] op_sel_hi:[1,0,0]
	v_pk_fma_f32 v[72:73], v[72:73], s[2:3], v[74:75] op_sel:[0,0,1] op_sel_hi:[1,0,0] neg_lo:[0,0,1] neg_hi:[0,0,1]
	v_pk_add_f32 v[4:5], v[60:61], v[4:5]
	v_mov_b32_e32 v65, v67
	v_mov_b32_e32 v74, v68
	v_mov_b32_e32 v75, v73
	v_pk_add_f32 v[4:5], v[64:65], v[4:5]
	v_mov_b32_e32 v73, v69
	v_pk_add_f32 v[48:49], v[74:75], v[48:49]
	v_pk_add_f32 v[4:5], v[72:73], v[4:5]
	v_mov_b32_e32 v145, v161
	v_mov_b32_e32 v109, v125
	ds_write2_b64 v142, v[48:49], v[4:5] offset0:8 offset1:9
	v_pk_add_f32 v[4:5], v[8:9], v[144:145]
	v_mov_b32_e32 v147, v165
	v_pk_add_f32 v[44:45], v[8:9], v[108:109]
	v_mov_b32_e32 v111, v129
	;; [unrolled: 2-line block ×14, first 2 shown]
	v_pk_add_f32 v[4:5], v[158:159], v[4:5]
	v_pk_add_f32 v[44:45], v[122:123], v[44:45]
	v_mov_b32_e32 v79, v77
	ds_write2_b64 v142, v[4:5], v[44:45] offset0:10 offset1:11
	v_pk_add_f32 v[4:5], v[8:9], v[78:79]
	v_mov_b32_e32 v83, v81
	v_pk_add_f32 v[4:5], v[82:83], v[4:5]
	v_mov_b32_e32 v87, v85
	;; [unrolled: 2-line block ×6, first 2 shown]
	v_mov_b32_e32 v228, v38
	v_mov_b32_e32 v229, v71
	v_pk_add_f32 v[4:5], v[102:103], v[4:5]
	v_mov_b32_e32 v107, v105
	v_pk_add_f32 v[226:227], v[228:229], v[226:227]
	v_pk_add_f32 v[4:5], v[106:107], v[4:5]
	v_mov_b32_e32 v13, v11
	ds_write2_b64 v142, v[242:243], v[226:227] offset1:1
	ds_write2_b64 v142, v[4:5], v[6:7] offset0:12 offset1:13
	ds_write2_b64 v142, v[0:1], v[2:3] offset0:14 offset1:15
	v_pk_add_f32 v[4:5], v[8:9], v[12:13]
	v_mov_b32_e32 v17, v15
	v_pk_add_f32 v[4:5], v[16:17], v[4:5]
	v_mov_b32_e32 v21, v19
	;; [unrolled: 2-line block ×7, first 2 shown]
	v_pk_add_f32 v[4:5], v[70:71], v[4:5]
	ds_write_b64 v142, v[4:5] offset:128
.LBB0_13:
	s_or_b64 exec, exec, s[18:19]
	s_movk_i32 s2, 0xf1
	v_mul_lo_u16_sdwa v4, v42, s2 dst_sel:DWORD dst_unused:UNUSED_PAD src0_sel:BYTE_0 src1_sel:DWORD
	v_lshrrev_b16_e32 v138, 12, v4
	v_mul_lo_u16_e32 v4, 17, v138
	v_sub_u16_e32 v139, v42, v4
	v_mov_b32_e32 v4, 12
	v_mul_u32_u24_sdwa v4, v139, v4 dst_sel:DWORD dst_unused:UNUSED_PAD src0_sel:BYTE_0 src1_sel:DWORD
	v_lshlrev_b32_e32 v53, 3, v4
	s_waitcnt lgkmcnt(0)
	s_barrier
	global_load_dwordx4 v[16:19], v53, s[4:5] offset:32
	global_load_dwordx4 v[20:23], v53, s[4:5] offset:48
	;; [unrolled: 1-line block ×4, first 2 shown]
	v_add_u32_e32 v44, 0x800, v188
	ds_read2_b64 v[8:11], v188 offset1:136
	ds_read2_b64 v[12:15], v189 offset0:32 offset1:168
	ds_read2_b64 v[32:35], v190 offset0:48 offset1:184
	;; [unrolled: 1-line block ×3, first 2 shown]
	v_add_u32_e32 v43, 0x2800, v188
	ds_read_b64 v[4:5], v188 offset:13056
	ds_read2_b64 v[44:47], v44 offset0:16 offset1:152
	ds_read2_b64 v[48:51], v43 offset0:80 offset1:216
	global_load_dwordx4 v[56:59], v53, s[4:5] offset:16
	global_load_dwordx4 v[62:65], v53, s[4:5]
	s_waitcnt lgkmcnt(4)
	v_mov_b32_e32 v60, v33
	v_mov_b32_e32 v61, v15
	;; [unrolled: 1-line block ×3, first 2 shown]
	s_waitcnt lgkmcnt(3)
	v_mov_b32_e32 v67, v37
	s_waitcnt lgkmcnt(0)
	v_mov_b32_e32 v68, v49
	s_mov_b32 s12, 0xbf3f9e67
	s_mov_b32 s14, 0xbf29c268
	;; [unrolled: 1-line block ×4, first 2 shown]
	v_mov_b32_e32 v52, v39
	s_mov_b32 s18, 0x3f52af12
	s_mov_b32 s2, 0xbf788fa5
	s_mov_b32 s8, 0x3eedf032
	s_mov_b32 s10, s13
	s_mov_b32 s11, s15
	s_mov_b32 s19, 0x3e750f2a
	v_mov_b32_e32 v70, v51
	s_mov_b32 s16, 0xbe750f2a
	s_mov_b32 s17, s14
	;; [unrolled: 1-line block ×7, first 2 shown]
	v_mov_b32_e32 v54, v5
	s_mov_b32 s3, s12
	s_mov_b32 s7, 0x3df6dbef
	;; [unrolled: 1-line block ×10, first 2 shown]
	s_barrier
	s_mov_b32 s38, 0x3f29c268
	s_waitcnt vmcnt(5)
	v_pk_mul_f32 v[72:73], v[14:15], v[16:17]
	v_mul_f32_e32 v76, v33, v19
	s_waitcnt vmcnt(3)
	v_pk_mul_f32 v[84:85], v[38:39], v[24:25]
	v_pk_mul_f32 v[86:87], v[48:49], v[26:27]
	v_mul_f32_e32 v80, v35, v21
	v_pk_mul_f32 v[82:83], v[36:37], v[22:23]
	v_mov_b32_e32 v84, v25
	v_mov_b32_e32 v86, v27
	;; [unrolled: 1-line block ×8, first 2 shown]
	v_mul_f32_e32 v74, v32, v18
	v_mul_f32_e32 v78, v34, v20
	s_waitcnt vmcnt(2)
	v_pk_mul_f32 v[88:89], v[50:51], v[28:29]
	v_mov_b32_e32 v92, v18
	v_mov_b32_e32 v14, v20
	;; [unrolled: 1-line block ×3, first 2 shown]
	v_pk_mul_f32 v[20:21], v[38:39], v[84:85]
	v_mov_b32_e32 v36, v87
	v_pk_mul_f32 v[84:85], v[48:49], v[86:87]
	v_mov_b32_e32 v75, v72
	v_mov_b32_e32 v77, v73
	v_pk_mul_f32 v[16:17], v[32:33], v[16:17]
	v_mov_b32_e32 v79, v82
	v_mov_b32_e32 v81, v83
	v_pk_mul_f32 v[22:23], v[34:35], v[22:23]
	v_mov_b32_e32 v86, v89
	v_pk_fma_f32 v[82:83], v[48:49], v[26:27], v[36:37]
	v_pk_fma_f32 v[36:37], v[68:69], v[26:27], v[84:85] neg_lo:[0,0,1] neg_hi:[0,0,1]
	v_pk_add_f32 v[76:77], v[74:75], v[76:77]
	v_pk_fma_f32 v[68:69], v[60:61], v[92:93], v[16:17] neg_lo:[0,0,1] neg_hi:[0,0,1]
	v_pk_add_f32 v[74:75], v[78:79], v[80:81]
	v_pk_fma_f32 v[78:79], v[66:67], v[14:15], v[22:23] neg_lo:[0,0,1] neg_hi:[0,0,1]
	v_pk_fma_f32 v[84:85], v[50:51], v[28:29], v[86:87]
	v_pk_add_f32 v[80:81], v[68:69], v[78:79]
	v_pk_add_f32 v[86:87], v[76:77], v[74:75] neg_lo:[0,1] neg_hi:[0,1]
	v_mov_b32_e32 v88, v29
	v_pk_mul_f32 v[90:91], v[4:5], v[30:31]
	v_pk_fma_f32 v[72:73], v[38:39], v[24:25], v[18:19]
	v_pk_fma_f32 v[38:39], v[52:53], v[24:25], v[20:21] neg_lo:[0,0,1] neg_hi:[0,0,1]
	v_pk_add_f32 v[34:35], v[76:77], v[74:75]
	v_pk_add_f32 v[66:67], v[68:69], v[78:79] neg_lo:[0,1] neg_hi:[0,1]
	v_mov_b32_e32 v20, v81
	v_mov_b32_e32 v21, v87
	v_mov_b32_e32 v90, v31
	v_pk_mul_f32 v[88:89], v[50:51], v[88:89]
	v_pk_mul_f32 v[16:17], v[34:35], s[12:13]
	;; [unrolled: 1-line block ×4, first 2 shown]
	v_mov_b32_e32 v94, v91
	v_pk_mul_f32 v[90:91], v[4:5], v[90:91]
	v_pk_fma_f32 v[48:49], v[70:71], v[28:29], v[88:89] neg_lo:[0,0,1] neg_hi:[0,0,1]
	v_pk_mul_f32 v[18:19], v[66:67], s[14:15]
	v_pk_mul_f32 v[88:89], v[66:67], s[16:17]
	;; [unrolled: 1-line block ×3, first 2 shown]
	v_mov_b32_e32 v17, v26
	v_pk_fma_f32 v[120:121], v[34:35], s[20:21], v[118:119]
	v_pk_fma_f32 v[52:53], v[34:35], s[20:21], v[118:119] neg_lo:[0,0,1] neg_hi:[0,0,1]
	v_pk_mul_f32 v[122:123], v[80:81], s[20:21]
	s_mov_b32 s20, s6
	s_mov_b32 s21, s8
	v_mov_b32_e32 v60, v35
	v_mov_b32_e32 v61, v87
	v_pk_fma_f32 v[70:71], v[4:5], v[30:31], v[94:95]
	v_pk_fma_f32 v[50:51], v[54:55], v[30:31], v[90:91] neg_lo:[0,0,1] neg_hi:[0,0,1]
	v_pk_fma_f32 v[100:101], v[34:35], s[12:13], v[18:19]
	v_pk_fma_f32 v[14:15], v[34:35], s[12:13], v[18:19] neg_lo:[0,0,1] neg_hi:[0,0,1]
	;; [unrolled: 2-line block ×4, first 2 shown]
	v_pk_fma_f32 v[110:111], v[20:21], s[10:11], v[16:17] neg_lo:[1,0,0] neg_hi:[1,0,0]
	v_pk_fma_f32 v[28:29], v[20:21], s[10:11], v[16:17]
	v_mov_b32_e32 v26, v86
	v_mov_b32_e32 v27, v80
	s_mov_b32 s10, s14
	s_mov_b32 s11, s12
	v_pk_mul_f32 v[128:129], v[60:61], s[20:21]
	v_mov_b32_e32 v35, v86
	s_mov_b32 s20, s27
	s_mov_b32 s21, s26
	v_pk_mul_f32 v[30:31], v[26:27], s[10:11]
	v_mov_b32_e32 v28, v67
	v_pk_mul_f32 v[132:133], v[34:35], s[20:21]
	v_mov_b32_e32 v17, v30
	v_pk_fma_f32 v[98:99], v[28:29], s[30:31], v[128:129] neg_lo:[1,0,0] neg_hi:[1,0,0]
	v_mov_b32_e32 v96, v67
	v_mov_b32_e32 v94, v66
	v_pk_fma_f32 v[134:135], v[66:67], s[26:27], v[132:133] neg_lo:[1,0,0] neg_hi:[1,0,0]
	v_mov_b32_e32 v19, 3
	s_waitcnt vmcnt(1)
	v_mov_b32_e32 v66, v59
	v_mov_b32_e32 v67, v58
	v_mov_b32_e32 v28, v13
	v_pk_mul_f32 v[58:59], v[58:59], v[12:13] op_sel_hi:[1,0]
	v_pk_fma_f32 v[32:33], v[26:27], s[10:11], v[16:17]
	v_mul_u32_u24_e32 v17, 0x6e8, v138
	v_lshlrev_b32_sdwa v19, v19, v139 dst_sel:DWORD dst_unused:UNUSED_PAD src0_sel:DWORD src1_sel:BYTE_0
	v_pk_fma_f32 v[138:139], v[66:67], v[28:29], v[58:59]
	v_mov_b32_e32 v83, v36
	v_mov_b32_e32 v28, v11
	s_waitcnt vmcnt(0)
	v_pk_mul_f32 v[36:37], v[62:63], v[10:11] op_sel_hi:[1,0]
	v_mov_b32_e32 v73, v38
	v_pk_fma_f32 v[38:39], v[62:63], v[28:29], v[36:37] op_sel:[1,0,0] op_sel_hi:[0,1,1]
	v_pk_fma_f32 v[10:11], v[62:63], v[10:11], v[36:37] op_sel:[1,1,0] op_sel_hi:[0,1,1] neg_lo:[0,0,1] neg_hi:[0,0,1]
	v_mov_b32_e32 v39, v11
	v_pk_mul_f32 v[10:11], v[64:65], v[44:45] op_sel:[0,1]
	v_pk_fma_f32 v[12:13], v[66:67], v[12:13], v[58:59] op_sel:[0,1,0] neg_lo:[0,0,1] neg_hi:[0,0,1]
	v_pk_fma_f32 v[58:59], v[64:65], v[44:45], v[10:11] op_sel:[0,0,1] op_sel_hi:[1,1,0]
	v_pk_fma_f32 v[10:11], v[64:65], v[44:45], v[10:11] op_sel:[0,0,1] op_sel_hi:[1,0,0] neg_lo:[1,0,0] neg_hi:[1,0,0]
	v_mov_b32_e32 v71, v50
	v_mov_b32_e32 v59, v11
	v_pk_mul_f32 v[10:11], v[56:57], v[46:47] op_sel:[0,1]
	v_pk_mul_f32 v[104:105], v[80:81], s[6:7]
	v_pk_mul_f32 v[112:113], v[80:81], s[2:3]
	v_mov_b32_e32 v97, v81
	v_mov_b32_e32 v95, v80
	v_pk_fma_f32 v[66:67], v[56:57], v[46:47], v[10:11] op_sel:[0,0,1] op_sel_hi:[1,1,0]
	v_pk_fma_f32 v[10:11], v[56:57], v[46:47], v[10:11] op_sel:[0,0,1] op_sel_hi:[1,0,0] neg_lo:[1,0,0] neg_hi:[1,0,0]
	v_pk_add_f32 v[80:81], v[38:39], v[70:71] neg_lo:[0,1] neg_hi:[0,1]
	v_mov_b32_e32 v140, v74
	v_mov_b32_e32 v141, v78
	;; [unrolled: 1-line block ×5, first 2 shown]
	v_pk_add_f32 v[10:11], v[38:39], v[8:9]
	v_pk_add_f32 v[74:75], v[38:39], v[70:71]
	v_pk_mul_f32 v[38:39], v[80:81], s[22:23] op_sel:[1,0] op_sel_hi:[0,0]
	v_pk_mul_f32 v[106:107], v[86:87], s[8:9]
	v_pk_fma_f32 v[108:109], v[86:87], s[8:9], v[104:105] neg_lo:[1,0,0] neg_hi:[1,0,0]
	v_pk_fma_f32 v[24:25], v[86:87], s[8:9], v[104:105]
	v_pk_mul_f32 v[114:115], v[86:87], s[16:17]
	v_pk_fma_f32 v[116:117], v[86:87], s[16:17], v[112:113] neg_lo:[1,0,0] neg_hi:[1,0,0]
	v_pk_fma_f32 v[20:21], v[86:87], s[16:17], v[112:113]
	;; [unrolled: 3-line block ×3, first 2 shown]
	v_pk_fma_f32 v[36:37], v[74:75], s[6:7], v[38:39] op_sel_hi:[1,0,1]
	v_pk_fma_f32 v[38:39], v[74:75], s[6:7], v[38:39] op_sel_hi:[1,0,1] neg_lo:[0,0,1] neg_hi:[0,0,1]
	v_pk_add_f32 v[86:87], v[58:59], v[84:85] neg_lo:[0,1] neg_hi:[0,1]
	v_mov_b32_e32 v44, v36
	v_mov_b32_e32 v45, v39
	v_pk_add_f32 v[62:63], v[58:59], v[84:85]
	v_pk_mul_f32 v[46:47], v[86:87], s[36:37] op_sel:[1,0] op_sel_hi:[0,0]
	v_pk_add_f32 v[10:11], v[10:11], v[58:59]
	v_mov_b32_e32 v139, v13
	v_pk_add_f32 v[48:49], v[44:45], v[8:9]
	v_pk_fma_f32 v[44:45], v[62:63], s[34:35], v[46:47] op_sel_hi:[1,0,1]
	v_pk_fma_f32 v[46:47], v[62:63], s[34:35], v[46:47] op_sel_hi:[1,0,1] neg_lo:[0,0,1] neg_hi:[0,0,1]
	v_pk_add_f32 v[10:11], v[10:11], v[66:67]
	v_mov_b32_e32 v12, v77
	v_mov_b32_e32 v13, v69
	;; [unrolled: 1-line block ×5, first 2 shown]
	v_pk_add_f32 v[68:69], v[66:67], v[82:83] neg_lo:[0,1] neg_hi:[0,1]
	v_pk_add_f32 v[10:11], v[10:11], v[138:139]
	v_add3_u32 v43, 0, v17, v19
	v_pk_add_f32 v[56:57], v[50:51], v[48:49]
	v_pk_add_f32 v[64:65], v[66:67], v[82:83]
	v_pk_mul_f32 v[50:51], v[68:69], s[28:29] op_sel:[1,0] op_sel_hi:[0,0]
	v_mov_b32_e32 v17, v112
	v_mov_b32_e32 v89, v114
	v_pk_add_f32 v[10:11], v[10:11], v[12:13]
	v_pk_fma_f32 v[48:49], v[64:65], s[24:25], v[50:51] op_sel_hi:[1,0,1]
	v_pk_fma_f32 v[50:51], v[64:65], s[24:25], v[50:51] op_sel_hi:[1,0,1] neg_lo:[0,0,1] neg_hi:[0,0,1]
	v_pk_add_f32 v[112:113], v[16:17], v[88:89] neg_lo:[0,1] neg_hi:[0,1]
	v_pk_add_f32 v[88:89], v[138:139], v[72:73] neg_lo:[0,1] neg_hi:[0,1]
	v_pk_add_f32 v[10:11], v[10:11], v[76:77]
	v_mov_b32_e32 v142, v48
	v_mov_b32_e32 v143, v51
	v_pk_add_f32 v[66:67], v[138:139], v[72:73]
	s_mov_b32 s22, s27
	v_pk_mul_f32 v[58:59], v[88:89], s[26:27] op_sel_hi:[1,0]
	v_pk_add_f32 v[10:11], v[10:11], v[140:141]
	v_pk_add_f32 v[142:143], v[142:143], v[56:57]
	v_pk_fma_f32 v[56:57], v[66:67], s[22:23], v[58:59] op_sel:[0,0,1] op_sel_hi:[1,0,0]
	v_pk_fma_f32 v[58:59], v[66:67], s[22:23], v[58:59] op_sel:[0,0,1] op_sel_hi:[1,0,0] neg_lo:[0,0,1] neg_hi:[0,0,1]
	v_pk_add_f32 v[10:11], v[10:11], v[78:79]
	v_mov_b32_e32 v114, v56
	v_mov_b32_e32 v115, v59
	v_pk_add_f32 v[10:11], v[10:11], v[72:73]
	v_pk_add_f32 v[114:115], v[114:115], v[142:143]
	v_pk_add_f32 v[10:11], v[10:11], v[82:83]
	v_mov_b32_e32 v116, v91
	v_mov_b32_e32 v112, v90
	v_pk_add_f32 v[10:11], v[10:11], v[84:85]
	v_pk_add_f32 v[12:13], v[116:117], v[114:115]
	;; [unrolled: 1-line block ×4, first 2 shown]
	ds_write2_b64 v43, v[10:11], v[12:13] offset1:17
	v_pk_mul_f32 v[12:13], v[80:81], s[36:37] op_sel:[1,0] op_sel_hi:[0,0]
	v_pk_fma_f32 v[70:71], v[74:75], s[34:35], v[12:13] op_sel_hi:[1,0,1]
	v_pk_fma_f32 v[72:73], v[74:75], s[34:35], v[12:13] op_sel_hi:[1,0,1] neg_lo:[0,0,1] neg_hi:[0,0,1]
	v_pk_mul_f32 v[78:79], v[86:87], s[26:27] op_sel:[1,0] op_sel_hi:[0,0]
	v_mov_b32_e32 v12, v70
	v_mov_b32_e32 v13, v73
	v_pk_fma_f32 v[76:77], v[62:63], s[22:23], v[78:79] op_sel_hi:[1,0,1]
	v_pk_fma_f32 v[78:79], v[62:63], s[22:23], v[78:79] op_sel_hi:[1,0,1] neg_lo:[0,0,1] neg_hi:[0,0,1]
	v_pk_add_f32 v[12:13], v[12:13], v[8:9]
	v_mov_b32_e32 v82, v76
	v_mov_b32_e32 v83, v79
	v_pk_mul_f32 v[84:85], v[68:69], s[16:17] op_sel:[1,0] op_sel_hi:[0,0]
	v_mov_b32_e32 v11, v104
	v_mov_b32_e32 v93, v106
	v_pk_add_f32 v[12:13], v[82:83], v[12:13]
	v_pk_fma_f32 v[82:83], v[64:65], s[2:3], v[84:85] op_sel_hi:[1,0,1]
	v_pk_fma_f32 v[84:85], v[64:65], s[2:3], v[84:85] op_sel_hi:[1,0,1] neg_lo:[0,0,1] neg_hi:[0,0,1]
	v_pk_add_f32 v[10:11], v[10:11], v[92:93] neg_lo:[0,1] neg_hi:[0,1]
	v_mov_b32_e32 v90, v82
	v_mov_b32_e32 v91, v85
	v_pk_mul_f32 v[92:93], v[88:89], s[38:39] op_sel_hi:[1,0]
	v_pk_add_f32 v[12:13], v[90:91], v[12:13]
	v_pk_fma_f32 v[90:91], v[66:67], s[12:13], v[92:93] op_sel:[0,0,1] op_sel_hi:[1,0,0]
	v_pk_fma_f32 v[92:93], v[66:67], s[12:13], v[92:93] op_sel:[0,0,1] op_sel_hi:[1,0,0] neg_lo:[0,0,1] neg_hi:[0,0,1]
	v_mov_b32_e32 v104, v90
	v_mov_b32_e32 v105, v93
	v_pk_add_f32 v[12:13], v[104:105], v[12:13]
	v_mov_b32_e32 v108, v103
	v_mov_b32_e32 v10, v102
	v_pk_add_f32 v[12:13], v[108:109], v[12:13]
	v_mov_b32_e32 v32, v101
	v_pk_add_f32 v[102:103], v[10:11], v[12:13]
	v_pk_mul_f32 v[12:13], v[80:81], s[26:27] op_sel:[1,0] op_sel_hi:[0,0]
	v_pk_fma_f32 v[100:101], v[74:75], s[22:23], v[12:13] op_sel_hi:[1,0,1]
	v_pk_fma_f32 v[12:13], v[74:75], s[22:23], v[12:13] op_sel_hi:[1,0,1] neg_lo:[0,0,1] neg_hi:[0,0,1]
	v_pk_mul_f32 v[106:107], v[86:87], s[38:39] op_sel:[1,0] op_sel_hi:[0,0]
	v_mov_b32_e32 v104, v100
	v_mov_b32_e32 v105, v13
	v_pk_fma_f32 v[108:109], v[62:63], s[12:13], v[106:107] op_sel_hi:[1,0,1]
	v_pk_fma_f32 v[106:107], v[62:63], s[12:13], v[106:107] op_sel_hi:[1,0,1] neg_lo:[0,0,1] neg_hi:[0,0,1]
	v_mov_b32_e32 v17, v111
	v_pk_add_f32 v[104:105], v[104:105], v[8:9]
	v_mov_b32_e32 v110, v108
	v_mov_b32_e32 v111, v107
	v_pk_add_f32 v[104:105], v[110:111], v[104:105]
	v_pk_mul_f32 v[110:111], v[68:69], s[8:9] op_sel:[1,0] op_sel_hi:[0,0]
	v_pk_fma_f32 v[112:113], v[64:65], s[6:7], v[110:111] op_sel_hi:[1,0,1]
	v_pk_fma_f32 v[110:111], v[64:65], s[6:7], v[110:111] op_sel_hi:[1,0,1] neg_lo:[0,0,1] neg_hi:[0,0,1]
	v_mov_b32_e32 v114, v112
	v_mov_b32_e32 v115, v111
	v_pk_add_f32 v[104:105], v[114:115], v[104:105]
	v_pk_mul_f32 v[114:115], v[88:89], s[28:29] op_sel_hi:[1,0]
	v_mov_b32_e32 v11, v122
	v_mov_b32_e32 v119, v124
	v_pk_fma_f32 v[116:117], v[66:67], s[24:25], v[114:115] op_sel:[0,0,1] op_sel_hi:[1,0,0]
	v_pk_fma_f32 v[114:115], v[66:67], s[24:25], v[114:115] op_sel:[0,0,1] op_sel_hi:[1,0,0] neg_lo:[0,0,1] neg_hi:[0,0,1]
	v_pk_add_f32 v[10:11], v[10:11], v[118:119] neg_lo:[0,1] neg_hi:[0,1]
	v_mov_b32_e32 v118, v116
	v_mov_b32_e32 v119, v115
	v_pk_add_f32 v[104:105], v[118:119], v[104:105]
	v_mov_b32_e32 v126, v121
	v_mov_b32_e32 v10, v120
	v_pk_add_f32 v[104:105], v[126:127], v[104:105]
	v_pk_fma_f32 v[130:131], v[96:97], s[30:31], v[128:129]
	v_pk_add_f32 v[104:105], v[10:11], v[104:105]
	v_pk_fma_f32 v[10:11], v[96:97], s[30:31], v[128:129] neg_lo:[0,0,1] neg_hi:[0,0,1]
	v_mov_b32_e32 v99, v131
	v_pk_fma_f32 v[136:137], v[94:95], s[26:27], v[132:133]
	v_mov_b32_e32 v131, v11
	v_pk_fma_f32 v[10:11], v[94:95], s[26:27], v[132:133] neg_lo:[0,0,1] neg_hi:[0,0,1]
	v_mov_b32_e32 v135, v137
	v_mov_b32_e32 v137, v11
	v_pk_mul_f32 v[10:11], v[80:81], s[14:15] op_sel:[1,0] op_sel_hi:[0,0]
	s_mov_b32 s30, s9
	v_pk_fma_f32 v[118:119], v[74:75], s[12:13], v[10:11] op_sel_hi:[1,0,1]
	v_pk_fma_f32 v[10:11], v[74:75], s[12:13], v[10:11] op_sel_hi:[1,0,1] neg_lo:[0,0,1] neg_hi:[0,0,1]
	v_pk_mul_f32 v[122:123], v[86:87], s[30:31] op_sel:[1,0] op_sel_hi:[0,0]
	v_mov_b32_e32 v121, v11
	v_pk_fma_f32 v[124:125], v[62:63], s[24:25], v[122:123] op_sel_hi:[1,0,1]
	v_pk_fma_f32 v[122:123], v[62:63], s[24:25], v[122:123] op_sel_hi:[1,0,1] neg_lo:[0,0,1] neg_hi:[0,0,1]
	v_mov_b32_e32 v11, v119
	v_mov_b32_e32 v120, v118
	;; [unrolled: 1-line block ×3, first 2 shown]
	v_pk_add_f32 v[10:11], v[10:11], v[8:9]
	v_mov_b32_e32 v123, v125
	v_pk_mul_f32 v[118:119], v[68:69], s[36:37] op_sel:[1,0] op_sel_hi:[0,0]
	v_pk_add_f32 v[10:11], v[122:123], v[10:11]
	v_pk_fma_f32 v[122:123], v[64:65], s[34:35], v[118:119] op_sel_hi:[1,0,1]
	v_pk_fma_f32 v[118:119], v[64:65], s[34:35], v[118:119] op_sel_hi:[1,0,1] neg_lo:[0,0,1] neg_hi:[0,0,1]
	s_mov_b32 s30, s19
	v_mov_b32_e32 v125, v119
	v_mov_b32_e32 v119, v123
	v_pk_add_f32 v[120:121], v[120:121], v[8:9]
	v_mov_b32_e32 v126, v124
	v_pk_add_f32 v[10:11], v[118:119], v[10:11]
	v_pk_mul_f32 v[118:119], v[88:89], s[30:31] op_sel_hi:[1,0]
	v_pk_add_f32 v[120:121], v[126:127], v[120:121]
	v_mov_b32_e32 v124, v122
	v_pk_fma_f32 v[122:123], v[66:67], s[2:3], v[118:119] op_sel:[0,0,1] op_sel_hi:[1,0,0]
	v_pk_fma_f32 v[118:119], v[66:67], s[2:3], v[118:119] op_sel:[0,0,1] op_sel_hi:[1,0,0] neg_lo:[0,0,1] neg_hi:[0,0,1]
	v_pk_add_f32 v[120:121], v[124:125], v[120:121]
	v_mov_b32_e32 v124, v122
	v_mov_b32_e32 v125, v119
	;; [unrolled: 1-line block ×3, first 2 shown]
	v_pk_mul_f32 v[122:123], v[80:81], s[16:17] op_sel:[1,0] op_sel_hi:[0,0]
	v_pk_add_f32 v[120:121], v[124:125], v[120:121]
	v_pk_fma_f32 v[124:125], v[74:75], s[2:3], v[122:123] op_sel_hi:[1,0,1]
	v_pk_fma_f32 v[122:123], v[74:75], s[2:3], v[122:123] op_sel_hi:[1,0,1] neg_lo:[0,0,1] neg_hi:[0,0,1]
	v_pk_mul_f32 v[128:129], v[86:87], s[8:9] op_sel:[1,0] op_sel_hi:[0,0]
	v_pk_add_f32 v[10:11], v[118:119], v[10:11]
	v_pk_add_f32 v[118:119], v[130:131], v[120:121]
	v_mov_b32_e32 v126, v124
	v_mov_b32_e32 v127, v123
	v_pk_fma_f32 v[130:131], v[62:63], s[6:7], v[128:129] op_sel_hi:[1,0,1]
	v_pk_fma_f32 v[128:129], v[62:63], s[6:7], v[128:129] op_sel_hi:[1,0,1] neg_lo:[0,0,1] neg_hi:[0,0,1]
	v_pk_add_f32 v[126:127], v[126:127], v[8:9]
	v_mov_b32_e32 v132, v130
	v_mov_b32_e32 v133, v129
	v_pk_add_f32 v[10:11], v[98:99], v[10:11]
	v_pk_add_f32 v[126:127], v[132:133], v[126:127]
	v_pk_mul_f32 v[132:133], v[68:69], s[14:15] op_sel:[1,0] op_sel_hi:[0,0]
	v_pk_add_f32 v[10:11], v[134:135], v[10:11]
	v_pk_mul_f32 v[96:97], v[96:97], s[26:27]
	s_mov_b32 s26, s9
	s_mov_b32 s27, s7
	v_pk_fma_f32 v[134:135], v[64:65], s[12:13], v[132:133] op_sel_hi:[1,0,1]
	v_pk_fma_f32 v[132:133], v[64:65], s[12:13], v[132:133] op_sel_hi:[1,0,1] neg_lo:[0,0,1] neg_hi:[0,0,1]
	v_pk_add_f32 v[98:99], v[136:137], v[118:119]
	v_pk_mul_f32 v[94:95], v[94:95], s[26:27]
	s_mov_b32 s26, s7
	s_mov_b32 s27, s9
	v_mov_b32_e32 v136, v134
	v_mov_b32_e32 v137, v133
	;; [unrolled: 1-line block ×3, first 2 shown]
	v_pk_fma_f32 v[118:119], v[34:35], s[26:27], v[94:95]
	v_pk_fma_f32 v[120:121], v[34:35], s[26:27], v[94:95] neg_lo:[1,0,0] neg_hi:[1,0,0]
	v_pk_add_f32 v[126:127], v[136:137], v[126:127]
	v_pk_mul_f32 v[136:137], v[88:89], s[18:19] op_sel_hi:[1,0]
	v_pk_fma_f32 v[34:35], v[34:35], s[26:27], v[94:95] neg_lo:[0,0,1] neg_hi:[0,0,1]
	v_pk_add_f32 v[94:95], v[122:123], v[8:9]
	v_mov_b32_e32 v129, v131
	v_pk_fma_f32 v[138:139], v[66:67], s[34:35], v[136:137] op_sel:[0,0,1] op_sel_hi:[1,0,0]
	v_pk_fma_f32 v[136:137], v[66:67], s[34:35], v[136:137] op_sel:[0,0,1] op_sel_hi:[1,0,0] neg_lo:[0,0,1] neg_hi:[0,0,1]
	v_pk_add_f32 v[94:95], v[128:129], v[94:95]
	v_mov_b32_e32 v133, v135
	ds_write2_b64 v43, v[104:105], v[98:99] offset0:68 offset1:85
	v_pk_fma_f32 v[98:99], v[60:61], s[20:21], v[96:97]
	v_pk_fma_f32 v[104:105], v[60:61], s[20:21], v[96:97] neg_lo:[1,0,0] neg_hi:[1,0,0]
	v_mov_b32_e32 v140, v138
	v_mov_b32_e32 v141, v137
	v_pk_fma_f32 v[60:61], v[60:61], s[20:21], v[96:97] neg_lo:[0,0,1] neg_hi:[0,0,1]
	v_pk_add_f32 v[94:95], v[132:133], v[94:95]
	v_mov_b32_e32 v137, v139
	v_mov_b32_e32 v13, v101
	;; [unrolled: 1-line block ×3, first 2 shown]
	v_pk_add_f32 v[126:127], v[140:141], v[126:127]
	v_mov_b32_e32 v61, v99
	v_pk_add_f32 v[94:95], v[136:137], v[94:95]
	v_pk_add_f32 v[12:13], v[12:13], v[8:9]
	v_mov_b32_e32 v107, v109
	v_mov_b32_e32 v120, v118
	v_pk_add_f32 v[104:105], v[104:105], v[126:127]
	v_mov_b32_e32 v35, v119
	v_pk_add_f32 v[60:61], v[60:61], v[94:95]
	v_pk_add_f32 v[12:13], v[106:107], v[12:13]
	v_mov_b32_e32 v111, v113
	v_pk_add_f32 v[104:105], v[120:121], v[104:105]
	v_pk_add_f32 v[34:35], v[34:35], v[60:61]
	;; [unrolled: 1-line block ×3, first 2 shown]
	v_mov_b32_e32 v115, v117
	ds_write2_b64 v43, v[104:105], v[34:35] offset0:102 offset1:119
	v_pk_add_f32 v[12:13], v[114:115], v[12:13]
	v_mov_b32_e32 v34, v53
	v_mov_b32_e32 v35, v55
	v_pk_add_f32 v[12:13], v[34:35], v[12:13]
	v_mov_b32_e32 v53, v54
	v_pk_add_f32 v[12:13], v[52:53], v[12:13]
	v_pk_mul_f32 v[52:53], v[80:81], s[28:29] op_sel:[1,0] op_sel_hi:[0,0]
	v_pk_fma_f32 v[54:55], v[74:75], s[24:25], v[52:53] op_sel_hi:[1,0,1] neg_lo:[0,0,1] neg_hi:[0,0,1]
	v_pk_fma_f32 v[60:61], v[74:75], s[24:25], v[52:53] op_sel_hi:[1,0,1]
	v_pk_mul_f32 v[34:35], v[74:75], s[24:25] op_sel_hi:[1,0]
	v_mov_b32_e32 v55, v61
	v_pk_mul_f32 v[60:61], v[62:63], s[2:3] op_sel_hi:[1,0]
	v_pk_mul_f32 v[74:75], v[86:87], s[16:17] op_sel:[1,0] op_sel_hi:[0,0]
	v_mov_b32_e32 v80, v60
	v_mov_b32_e32 v81, v34
	;; [unrolled: 1-line block ×6, first 2 shown]
	v_pk_add_f32 v[80:81], v[80:81], v[86:87]
	v_pk_add_f32 v[34:35], v[34:35], v[52:53] neg_lo:[0,1] neg_hi:[0,1]
	v_mov_b32_e32 v28, v81
	v_pk_add_f32 v[52:53], v[34:35], v[8:9]
	v_pk_add_f32 v[86:87], v[28:29], v[8:9]
	v_mov_b32_e32 v28, v53
	v_pk_fma_f32 v[52:53], v[62:63], s[2:3], v[74:75] op_sel_hi:[1,0,1] neg_lo:[0,0,1] neg_hi:[0,0,1]
	v_pk_fma_f32 v[60:61], v[62:63], s[2:3], v[74:75] op_sel_hi:[1,0,1]
	s_mov_b32 s2, 0x3f6f5d39
	v_pk_add_f32 v[54:55], v[54:55], v[8:9]
	v_mov_b32_e32 v53, v61
	v_pk_mul_f32 v[60:61], v[68:69], s[2:3] op_sel:[1,0] op_sel_hi:[0,0]
	v_pk_add_f32 v[52:53], v[52:53], v[54:55]
	v_pk_mul_f32 v[54:55], v[64:65], s[22:23] op_sel_hi:[1,0]
	v_pk_fma_f32 v[62:63], v[64:65], s[22:23], v[60:61] op_sel_hi:[1,0,1] neg_lo:[0,0,1] neg_hi:[0,0,1]
	v_pk_fma_f32 v[64:65], v[64:65], s[22:23], v[60:61] op_sel_hi:[1,0,1]
	v_mov_b32_e32 v69, v54
	v_mov_b32_e32 v63, v65
	v_pk_add_f32 v[52:53], v[62:63], v[52:53]
	v_pk_mul_f32 v[62:63], v[66:67], s[6:7] op_sel_hi:[1,0]
	v_pk_mul_f32 v[64:65], v[88:89], s[8:9] op_sel_hi:[1,0]
	v_mov_b32_e32 v68, v62
	v_mov_b32_e32 v74, v65
	;; [unrolled: 1-line block ×3, first 2 shown]
	v_pk_add_f32 v[68:69], v[68:69], v[74:75]
	v_mov_b32_e32 v54, v63
	v_mov_b32_e32 v60, v64
	v_pk_add_f32 v[80:81], v[80:81], v[86:87]
	v_pk_add_f32 v[34:35], v[34:35], v[28:29]
	v_mov_b32_e32 v28, v69
	v_pk_add_f32 v[54:55], v[54:55], v[60:61] neg_lo:[0,1] neg_hi:[0,1]
	v_pk_add_f32 v[74:75], v[28:29], v[80:81]
	v_mov_b32_e32 v28, v55
	v_pk_add_f32 v[34:35], v[28:29], v[34:35]
	v_pk_fma_f32 v[60:61], v[66:67], s[6:7], v[64:65] op_sel:[0,0,1] op_sel_hi:[1,0,0]
	v_pk_add_f32 v[34:35], v[54:55], v[34:35]
	v_pk_fma_f32 v[54:55], v[66:67], s[6:7], v[64:65] op_sel:[0,0,1] op_sel_hi:[1,0,0] neg_lo:[0,0,1] neg_hi:[0,0,1]
	v_mov_b32_e32 v28, v15
	v_mov_b32_e32 v55, v61
	v_pk_add_f32 v[52:53], v[54:55], v[52:53]
	v_pk_add_f32 v[68:69], v[68:69], v[74:75]
	;; [unrolled: 1-line block ×3, first 2 shown]
	v_mov_b32_e32 v15, v33
	v_pk_add_f32 v[14:15], v[14:15], v[28:29]
	v_mov_b32_e32 v28, v68
	v_mov_b32_e32 v29, v30
	v_pk_add_f32 v[30:31], v[32:33], v[68:69]
	v_pk_fma_f32 v[26:27], v[26:27], s[10:11], v[28:29] neg_lo:[0,0,1] neg_hi:[0,0,1]
	v_mov_b32_e32 v19, v34
	v_mov_b32_e32 v31, v27
	v_pk_add_f32 v[16:17], v[16:17], v[18:19]
	v_mov_b32_e32 v73, v71
	v_pk_add_f32 v[16:17], v[16:17], v[30:31]
	ds_write2_b64 v43, v[102:103], v[16:17] offset0:34 offset1:51
	v_pk_add_f32 v[16:17], v[72:73], v[8:9]
	v_mov_b32_e32 v79, v77
	v_mov_b32_e32 v39, v37
	v_pk_add_f32 v[16:17], v[78:79], v[16:17]
	v_mov_b32_e32 v85, v83
	v_pk_add_f32 v[8:9], v[38:39], v[8:9]
	;; [unrolled: 2-line block ×5, first 2 shown]
	v_mov_b32_e32 v18, v23
	v_mov_b32_e32 v19, v25
	v_pk_add_f32 v[8:9], v[50:51], v[8:9]
	v_mov_b32_e32 v59, v57
	v_pk_add_f32 v[16:17], v[18:19], v[16:17]
	v_pk_add_f32 v[8:9], v[58:59], v[8:9]
	v_mov_b32_e32 v18, v5
	v_mov_b32_e32 v19, v21
	v_mov_b32_e32 v23, v24
	v_pk_add_f32 v[8:9], v[18:19], v[8:9]
	v_mov_b32_e32 v5, v20
	v_pk_add_f32 v[16:17], v[22:23], v[16:17]
	v_pk_add_f32 v[4:5], v[4:5], v[8:9]
	v_add_u32_e32 v8, 0xd00, v188
	v_add_u32_e32 v9, 0x1b00, v188
	;; [unrolled: 1-line block ×3, first 2 shown]
	ds_write2_b64 v43, v[10:11], v[12:13] offset0:136 offset1:153
	ds_write2_b64 v43, v[14:15], v[16:17] offset0:170 offset1:187
	ds_write_b64 v43, v[4:5] offset:1632
	s_waitcnt lgkmcnt(0)
	s_barrier
	ds_read2_b64 v[18:21], v188 offset1:221
	ds_read2_b64 v[22:25], v8 offset0:26 offset1:247
	ds_read2_b64 v[26:29], v9 offset0:20 offset1:241
	;; [unrolled: 1-line block ×3, first 2 shown]
	s_movk_i32 s2, 0x55
	v_cmp_gt_u32_e32 vcc, s2, v42
	s_and_saveexec_b64 s[2:3], vcc
	s_cbranch_execz .LBB0_15
; %bb.14:
	v_add_u32_e32 v0, 0x400, v188
	ds_read2_b64 v[10:13], v0 offset0:8 offset1:229
	v_add_u32_e32 v0, 0x1200, v188
	ds_read2_b64 v[14:17], v0 offset0:2 offset1:223
	;; [unrolled: 2-line block ×4, first 2 shown]
.LBB0_15:
	s_or_b64 exec, exec, s[2:3]
	v_mul_u32_u24_e32 v35, 7, v42
	v_lshlrev_b32_e32 v35, 3, v35
	global_load_dwordx4 v[36:39], v35, s[4:5] offset:1632
	global_load_dwordx4 v[44:47], v35, s[4:5] offset:1648
	;; [unrolled: 1-line block ×3, first 2 shown]
	global_load_dwordx2 v[52:53], v35, s[4:5] offset:1680
	s_mov_b32 s2, 0x3f3504f3
	s_waitcnt lgkmcnt(0)
	s_barrier
	s_waitcnt vmcnt(3)
	v_pk_mul_f32 v[54:55], v[36:37], v[20:21] op_sel:[0,1]
	v_pk_mul_f32 v[56:57], v[38:39], v[22:23] op_sel:[0,1]
	s_waitcnt vmcnt(2)
	v_pk_mul_f32 v[58:59], v[44:45], v[24:25] op_sel:[0,1]
	v_pk_mul_f32 v[60:61], v[46:47], v[26:27] op_sel:[0,1]
	;; [unrolled: 3-line block ×3, first 2 shown]
	s_waitcnt vmcnt(0)
	v_pk_mul_f32 v[66:67], v[52:53], v[32:33] op_sel:[0,1]
	v_pk_fma_f32 v[68:69], v[36:37], v[20:21], v[54:55] op_sel:[0,0,1] op_sel_hi:[1,1,0]
	v_pk_fma_f32 v[20:21], v[36:37], v[20:21], v[54:55] op_sel:[0,0,1] op_sel_hi:[1,0,0] neg_lo:[1,0,0] neg_hi:[1,0,0]
	v_pk_fma_f32 v[36:37], v[38:39], v[22:23], v[56:57] op_sel:[0,0,1] op_sel_hi:[1,1,0]
	v_pk_fma_f32 v[22:23], v[38:39], v[22:23], v[56:57] op_sel:[0,0,1] op_sel_hi:[1,0,0] neg_lo:[1,0,0] neg_hi:[1,0,0]
	;; [unrolled: 2-line block ×7, first 2 shown]
	v_mov_b32_e32 v69, v21
	v_mov_b32_e32 v37, v23
	;; [unrolled: 1-line block ×7, first 2 shown]
	v_pk_add_f32 v[20:21], v[18:19], v[44:45] neg_lo:[0,1] neg_hi:[0,1]
	v_pk_add_f32 v[22:23], v[36:37], v[48:49] neg_lo:[0,1] neg_hi:[0,1]
	;; [unrolled: 1-line block ×4, first 2 shown]
	v_pk_fma_f32 v[18:19], v[18:19], 2.0, v[20:21] op_sel_hi:[1,0,1] neg_lo:[0,0,1] neg_hi:[0,0,1]
	v_pk_fma_f32 v[28:29], v[36:37], 2.0, v[22:23] op_sel_hi:[1,0,1] neg_lo:[0,0,1] neg_hi:[0,0,1]
	;; [unrolled: 1-line block ×4, first 2 shown]
	v_pk_add_f32 v[36:37], v[20:21], v[22:23] op_sel:[0,1] op_sel_hi:[1,0]
	v_pk_add_f32 v[22:23], v[20:21], v[22:23] op_sel:[0,1] op_sel_hi:[1,0] neg_lo:[0,1] neg_hi:[0,1]
	v_pk_add_f32 v[38:39], v[24:25], v[26:27] op_sel:[0,1] op_sel_hi:[1,0]
	v_pk_add_f32 v[26:27], v[24:25], v[26:27] op_sel:[0,1] op_sel_hi:[1,0] neg_lo:[0,1] neg_hi:[0,1]
	v_pk_add_f32 v[28:29], v[18:19], v[28:29] neg_lo:[0,1] neg_hi:[0,1]
	v_pk_add_f32 v[32:33], v[30:31], v[32:33] neg_lo:[0,1] neg_hi:[0,1]
	v_mov_b32_e32 v37, v23
	v_mov_b32_e32 v39, v27
	v_pk_fma_f32 v[22:23], v[30:31], 2.0, v[32:33] op_sel_hi:[1,0,1] neg_lo:[0,0,1] neg_hi:[0,0,1]
	v_pk_fma_f32 v[20:21], v[20:21], 2.0, v[36:37] op_sel_hi:[1,0,1] neg_lo:[0,0,1] neg_hi:[0,0,1]
	;; [unrolled: 1-line block ×3, first 2 shown]
	v_pk_add_f32 v[26:27], v[28:29], v[32:33] op_sel:[0,1] op_sel_hi:[1,0]
	v_pk_add_f32 v[30:31], v[28:29], v[32:33] op_sel:[0,1] op_sel_hi:[1,0] neg_lo:[0,1] neg_hi:[0,1]
	v_pk_mul_f32 v[32:33], v[38:39], s[2:3] op_sel_hi:[1,0]
	v_pk_fma_f32 v[38:39], v[38:39], s[2:3], v[36:37] op_sel_hi:[1,0,1]
	v_pk_mul_f32 v[44:45], v[24:25], s[2:3] op_sel_hi:[1,0]
	v_pk_fma_f32 v[24:25], v[24:25], s[2:3], v[20:21] op_sel_hi:[1,0,1] neg_lo:[1,0,0] neg_hi:[1,0,0]
	v_mov_b32_e32 v27, v31
	v_pk_add_f32 v[30:31], v[38:39], v[32:33] op_sel:[0,1] op_sel_hi:[1,0]
	v_pk_add_f32 v[32:33], v[38:39], v[32:33] op_sel:[0,1] op_sel_hi:[1,0] neg_lo:[0,1] neg_hi:[0,1]
	v_pk_fma_f32 v[18:19], v[18:19], 2.0, v[28:29] op_sel_hi:[1,0,1] neg_lo:[0,0,1] neg_hi:[0,0,1]
	v_pk_add_f32 v[38:39], v[24:25], v[44:45] op_sel:[0,1] op_sel_hi:[1,0]
	v_pk_add_f32 v[24:25], v[24:25], v[44:45] op_sel:[0,1] op_sel_hi:[1,0] neg_lo:[0,1] neg_hi:[0,1]
	v_mov_b32_e32 v31, v33
	v_pk_add_f32 v[22:23], v[18:19], v[22:23] neg_lo:[0,1] neg_hi:[0,1]
	v_pk_fma_f32 v[28:29], v[28:29], 2.0, v[26:27] op_sel_hi:[1,0,1] neg_lo:[0,0,1] neg_hi:[0,0,1]
	v_mov_b32_e32 v39, v25
	v_pk_fma_f32 v[24:25], v[36:37], 2.0, v[30:31] op_sel_hi:[1,0,1] neg_lo:[0,0,1] neg_hi:[0,0,1]
	v_pk_fma_f32 v[18:19], v[18:19], 2.0, v[22:23] op_sel_hi:[1,0,1] neg_lo:[0,0,1] neg_hi:[0,0,1]
	;; [unrolled: 1-line block ×3, first 2 shown]
	ds_write2_b64 v8, v[28:29], v[24:25] offset0:26 offset1:247
	ds_write2_b64 v9, v[22:23], v[38:39] offset0:20 offset1:241
	ds_write2_b64 v188, v[18:19], v[20:21] offset1:221
	ds_write2_b64 v34, v[26:27], v[30:31] offset0:14 offset1:235
	s_and_saveexec_b64 s[6:7], vcc
	s_cbranch_execz .LBB0_17
; %bb.16:
	v_add_u32_e32 v8, 0x88, v42
	v_add_u32_e32 v9, 0xffffffab, v42
	v_cndmask_b32_e32 v8, v9, v8, vcc
	v_mul_i32_i24_e32 v8, 7, v8
	v_mov_b32_e32 v9, 0
	v_lshl_add_u64 v[8:9], v[8:9], 3, s[4:5]
	global_load_dwordx4 v[18:21], v[8:9], off offset:1648
	global_load_dwordx4 v[22:25], v[8:9], off offset:1632
	;; [unrolled: 1-line block ×3, first 2 shown]
	global_load_dwordx2 v[30:31], v[8:9], off offset:1680
	v_mov_b32_e32 v8, v5
	v_mov_b32_e32 v32, v15
	;; [unrolled: 1-line block ×4, first 2 shown]
	v_add_u32_e32 v50, 0x1200, v188
	v_add_u32_e32 v43, 0x400, v188
	;; [unrolled: 1-line block ×4, first 2 shown]
	s_waitcnt vmcnt(3)
	v_pk_mul_f32 v[8:9], v[8:9], v[20:21] op_sel_hi:[0,1]
	s_waitcnt vmcnt(2)
	v_pk_mul_f32 v[32:33], v[32:33], v[24:25] op_sel_hi:[0,1]
	s_waitcnt vmcnt(1)
	v_pk_mul_f32 v[38:39], v[0:1], v[28:29] op_sel:[1,0]
	v_pk_mul_f32 v[34:35], v[34:35], v[22:23] op_sel_hi:[0,1]
	v_pk_mul_f32 v[44:45], v[6:7], v[26:27] op_sel:[1,0]
	v_pk_mul_f32 v[36:37], v[36:37], v[18:19] op_sel_hi:[0,1]
	s_waitcnt vmcnt(0)
	v_pk_mul_f32 v[46:47], v[2:3], v[30:31] op_sel:[1,0]
	v_pk_fma_f32 v[48:49], v[14:15], v[24:25], v[32:33] op_sel:[0,0,1] op_sel_hi:[1,1,0]
	v_pk_fma_f32 v[14:15], v[14:15], v[24:25], v[32:33] op_sel:[0,0,1] op_sel_hi:[0,1,0] neg_lo:[1,0,0] neg_hi:[1,0,0]
	v_pk_fma_f32 v[24:25], v[0:1], v[28:29], v[38:39] op_sel:[0,0,1] op_sel_hi:[1,1,0]
	v_pk_fma_f32 v[0:1], v[0:1], v[28:29], v[38:39] op_sel:[0,0,1] op_sel_hi:[0,1,0] neg_lo:[1,0,0] neg_hi:[1,0,0]
	;; [unrolled: 2-line block ×7, first 2 shown]
	v_mov_b32_e32 v49, v15
	v_mov_b32_e32 v25, v1
	;; [unrolled: 1-line block ×7, first 2 shown]
	v_pk_add_f32 v[0:1], v[48:49], v[24:25] neg_lo:[0,1] neg_hi:[0,1]
	v_pk_add_f32 v[2:3], v[10:11], v[28:29] neg_lo:[0,1] neg_hi:[0,1]
	;; [unrolled: 1-line block ×4, first 2 shown]
	v_pk_fma_f32 v[10:11], v[10:11], 2.0, v[2:3] op_sel_hi:[1,0,1] neg_lo:[0,0,1] neg_hi:[0,0,1]
	v_pk_fma_f32 v[12:13], v[48:49], 2.0, v[0:1] op_sel_hi:[1,0,1] neg_lo:[0,0,1] neg_hi:[0,0,1]
	;; [unrolled: 1-line block ×4, first 2 shown]
	v_pk_add_f32 v[16:17], v[2:3], v[0:1] op_sel:[0,1] op_sel_hi:[1,0]
	v_pk_add_f32 v[0:1], v[2:3], v[0:1] op_sel:[0,1] op_sel_hi:[1,0] neg_lo:[0,1] neg_hi:[0,1]
	v_pk_add_f32 v[18:19], v[6:7], v[4:5] op_sel:[0,1] op_sel_hi:[1,0]
	v_pk_add_f32 v[4:5], v[6:7], v[4:5] op_sel:[0,1] op_sel_hi:[1,0] neg_lo:[0,1] neg_hi:[0,1]
	v_pk_add_f32 v[12:13], v[10:11], v[12:13] neg_lo:[0,1] neg_hi:[0,1]
	v_pk_add_f32 v[8:9], v[14:15], v[8:9] neg_lo:[0,1] neg_hi:[0,1]
	v_mov_b32_e32 v17, v1
	v_mov_b32_e32 v19, v5
	v_pk_fma_f32 v[0:1], v[10:11], 2.0, v[12:13] op_sel_hi:[1,0,1] neg_lo:[0,0,1] neg_hi:[0,0,1]
	v_pk_fma_f32 v[4:5], v[14:15], 2.0, v[8:9] op_sel_hi:[1,0,1] neg_lo:[0,0,1] neg_hi:[0,0,1]
	;; [unrolled: 1-line block ×4, first 2 shown]
	v_pk_add_f32 v[10:11], v[12:13], v[8:9] op_sel:[0,1] op_sel_hi:[1,0]
	v_pk_add_f32 v[8:9], v[12:13], v[8:9] op_sel:[0,1] op_sel_hi:[1,0] neg_lo:[0,1] neg_hi:[0,1]
	v_pk_mul_f32 v[14:15], v[18:19], s[2:3] op_sel_hi:[1,0]
	v_pk_fma_f32 v[18:19], v[18:19], s[2:3], v[16:17] op_sel_hi:[1,0,1]
	v_pk_mul_f32 v[20:21], v[6:7], s[2:3] op_sel_hi:[1,0]
	v_pk_fma_f32 v[6:7], v[6:7], s[2:3], v[2:3] op_sel_hi:[1,0,1] neg_lo:[1,0,0] neg_hi:[1,0,0]
	v_mov_b32_e32 v11, v9
	v_pk_add_f32 v[8:9], v[18:19], v[14:15] op_sel:[0,1] op_sel_hi:[1,0]
	v_pk_add_f32 v[14:15], v[18:19], v[14:15] op_sel:[0,1] op_sel_hi:[1,0] neg_lo:[0,1] neg_hi:[0,1]
	v_pk_add_f32 v[18:19], v[6:7], v[20:21] op_sel:[0,1] op_sel_hi:[1,0]
	v_pk_add_f32 v[6:7], v[6:7], v[20:21] op_sel:[0,1] op_sel_hi:[1,0] neg_lo:[0,1] neg_hi:[0,1]
	v_mov_b32_e32 v9, v15
	v_pk_add_f32 v[4:5], v[0:1], v[4:5] neg_lo:[0,1] neg_hi:[0,1]
	v_pk_fma_f32 v[12:13], v[12:13], 2.0, v[10:11] op_sel_hi:[1,0,1] neg_lo:[0,0,1] neg_hi:[0,0,1]
	v_mov_b32_e32 v19, v7
	v_pk_fma_f32 v[6:7], v[16:17], 2.0, v[8:9] op_sel_hi:[1,0,1] neg_lo:[0,0,1] neg_hi:[0,0,1]
	v_pk_fma_f32 v[0:1], v[0:1], 2.0, v[4:5] op_sel_hi:[1,0,1] neg_lo:[0,0,1] neg_hi:[0,0,1]
	;; [unrolled: 1-line block ×3, first 2 shown]
	ds_write2_b64 v50, v[12:13], v[6:7] offset0:2 offset1:223
	ds_write2_b64 v51, v[4:5], v[18:19] offset0:28 offset1:249
	;; [unrolled: 1-line block ×4, first 2 shown]
.LBB0_17:
	s_or_b64 exec, exec, s[6:7]
	s_waitcnt lgkmcnt(0)
	s_barrier
	ds_read_b64 v[2:3], v188
	s_add_u32 s2, s4, 0x36b8
	v_lshlrev_b32_e32 v0, 3, v42
	s_addc_u32 s3, s5, 0
	v_sub_u32_e32 v8, 0, v0
	v_cmp_ne_u32_e32 vcc, 0, v42
                                        ; implicit-def: $vgpr6_vgpr7
                                        ; implicit-def: $vgpr5
                                        ; implicit-def: $vgpr0_vgpr1
	s_and_saveexec_b64 s[4:5], vcc
	s_xor_b64 s[4:5], exec, s[4:5]
	s_cbranch_execz .LBB0_19
; %bb.18:
	v_mov_b32_e32 v43, 0
	v_lshl_add_u64 v[0:1], v[42:43], 3, s[2:3]
	global_load_dwordx2 v[0:1], v[0:1], off
	ds_read_b64 v[4:5], v8 offset:14144
	v_mov_b32_e32 v7, 0.5
	v_mov_b32_e32 v10, v7
	s_waitcnt lgkmcnt(0)
	v_pk_add_f32 v[12:13], v[4:5], v[2:3]
	v_pk_add_f32 v[2:3], v[2:3], v[4:5] neg_lo:[0,1] neg_hi:[0,1]
	v_mov_b32_e32 v4, v13
	v_mov_b32_e32 v5, v2
	v_pk_mul_f32 v[14:15], v[4:5], 0.5 op_sel_hi:[1,0]
	s_waitcnt vmcnt(0)
	v_mov_b32_e32 v6, v1
	v_mov_b32_e32 v2, v15
	;; [unrolled: 1-line block ×4, first 2 shown]
	v_pk_mul_f32 v[2:3], v[6:7], v[2:3]
	v_pk_mul_f32 v[4:5], v[0:1], v[14:15] op_sel_hi:[0,1]
	v_pk_fma_f32 v[6:7], v[12:13], v[10:11], v[2:3]
	v_pk_fma_f32 v[2:3], v[12:13], v[10:11], v[2:3] neg_lo:[0,0,1] neg_hi:[0,0,1]
	v_add_f32_e32 v4, v4, v6
	v_sub_f32_e32 v5, v7, v5
	v_pk_fma_f32 v[6:7], v[0:1], v[14:15], v[2:3] op_sel_hi:[0,1,1] neg_lo:[1,0,0] neg_hi:[1,0,0]
	ds_write_b32 v188, v4
	v_mov_b64_e32 v[0:1], v[42:43]
                                        ; implicit-def: $vgpr2_vgpr3
.LBB0_19:
	s_andn2_saveexec_b64 s[4:5], s[4:5]
	s_cbranch_execz .LBB0_21
; %bb.20:
	s_waitcnt lgkmcnt(0)
	v_mov_b32_e32 v0, v3
	v_pk_add_f32 v[4:5], v[2:3], v[0:1] neg_lo:[0,1] neg_hi:[0,1]
	v_add_f32_e32 v2, v3, v2
	v_mov_b32_e32 v5, 0
	ds_read_b32 v6, v5 offset:7076
	v_mov_b64_e32 v[0:1], 0
	ds_write_b32 v188, v2
	s_waitcnt lgkmcnt(1)
	v_xor_b32_e32 v2, 0x80000000, v6
	v_mov_b64_e32 v[6:7], v[4:5]
	ds_write_b32 v5, v2 offset:7076
.LBB0_21:
	s_or_b64 exec, exec, s[4:5]
	s_waitcnt lgkmcnt(0)
	v_lshl_add_u64 v[2:3], v[0:1], 3, s[2:3]
	global_load_dwordx2 v[10:11], v[2:3], off offset:1088
	global_load_dwordx2 v[12:13], v[2:3], off offset:2176
	;; [unrolled: 1-line block ×3, first 2 shown]
	s_movk_i32 s2, 0x1000
	v_add_co_u32_e32 v16, vcc, s2, v2
	s_movk_i32 s2, 0x44
	s_nop 0
	v_addc_co_u32_e32 v17, vcc, 0, v3, vcc
	global_load_dwordx2 v[18:19], v[16:17], off offset:256
	ds_write_b32 v188, v5 offset:4
	ds_write_b64 v8, v[6:7] offset:14144
	ds_read_b64 v[6:7], v188 offset:1088
	ds_read_b64 v[20:21], v8 offset:13056
	global_load_dwordx2 v[16:17], v[16:17], off offset:1344
	v_mov_b32_e32 v5, 0.5
	v_mov_b32_e32 v22, v5
	v_cmp_gt_u32_e32 vcc, s2, v42
	s_waitcnt lgkmcnt(0)
	v_pk_add_f32 v[24:25], v[6:7], v[20:21]
	v_pk_add_f32 v[6:7], v[6:7], v[20:21] neg_lo:[0,1] neg_hi:[0,1]
	v_mov_b32_e32 v20, v25
	v_mov_b32_e32 v21, v6
	v_pk_mul_f32 v[20:21], v[20:21], 0.5 op_sel_hi:[1,0]
	s_waitcnt vmcnt(4)
	v_mov_b32_e32 v4, v11
	v_mov_b32_e32 v6, v21
	;; [unrolled: 1-line block ×4, first 2 shown]
	v_pk_mul_f32 v[6:7], v[4:5], v[6:7]
	s_waitcnt vmcnt(3)
	v_mov_b32_e32 v4, v13
	v_pk_fma_f32 v[26:27], v[24:25], v[22:23], v[6:7]
	v_pk_fma_f32 v[6:7], v[24:25], v[22:23], v[6:7] neg_lo:[0,0,1] neg_hi:[0,0,1]
	v_pk_fma_f32 v[22:23], v[10:11], v[20:21], v[26:27]
	v_pk_fma_f32 v[24:25], v[10:11], v[20:21], v[26:27] op_sel_hi:[0,1,1] neg_lo:[1,0,0] neg_hi:[1,0,0]
	v_mov_b32_e32 v23, v25
	v_pk_fma_f32 v[6:7], v[10:11], v[20:21], v[6:7] op_sel_hi:[0,1,1] neg_lo:[1,0,0] neg_hi:[1,0,0]
	ds_write_b64 v188, v[22:23] offset:1088
	ds_write_b64 v8, v[6:7] offset:13056
	ds_read_b64 v[6:7], v188 offset:2176
	ds_read_b64 v[10:11], v8 offset:11968
	v_mov_b32_e32 v20, v5
	v_mov_b32_e32 v21, v13
	s_waitcnt lgkmcnt(0)
	v_pk_add_f32 v[22:23], v[6:7], v[10:11]
	v_pk_add_f32 v[6:7], v[6:7], v[10:11] neg_lo:[0,1] neg_hi:[0,1]
	v_mov_b32_e32 v10, v23
	v_mov_b32_e32 v11, v6
	v_pk_mul_f32 v[10:11], v[10:11], 0.5 op_sel_hi:[1,0]
	s_nop 0
	v_mov_b32_e32 v6, v11
	v_mov_b32_e32 v23, v10
	v_pk_mul_f32 v[6:7], v[4:5], v[6:7]
	s_waitcnt vmcnt(2)
	v_mov_b32_e32 v4, v15
	v_pk_fma_f32 v[24:25], v[22:23], v[20:21], v[6:7]
	v_pk_fma_f32 v[6:7], v[22:23], v[20:21], v[6:7] neg_lo:[0,0,1] neg_hi:[0,0,1]
	v_pk_fma_f32 v[20:21], v[12:13], v[10:11], v[24:25]
	v_pk_fma_f32 v[22:23], v[12:13], v[10:11], v[24:25] op_sel_hi:[0,1,1] neg_lo:[1,0,0] neg_hi:[1,0,0]
	v_mov_b32_e32 v21, v23
	v_pk_fma_f32 v[6:7], v[12:13], v[10:11], v[6:7] op_sel_hi:[0,1,1] neg_lo:[1,0,0] neg_hi:[1,0,0]
	ds_write_b64 v188, v[20:21] offset:2176
	ds_write_b64 v8, v[6:7] offset:11968
	ds_read_b64 v[6:7], v188 offset:3264
	ds_read_b64 v[10:11], v8 offset:10880
	v_mov_b32_e32 v12, v5
	v_mov_b32_e32 v13, v15
	s_waitcnt lgkmcnt(0)
	v_pk_add_f32 v[20:21], v[6:7], v[10:11]
	v_pk_add_f32 v[6:7], v[6:7], v[10:11] neg_lo:[0,1] neg_hi:[0,1]
	v_mov_b32_e32 v10, v21
	v_mov_b32_e32 v11, v6
	v_pk_mul_f32 v[10:11], v[10:11], 0.5 op_sel_hi:[1,0]
	s_nop 0
	v_mov_b32_e32 v6, v11
	v_mov_b32_e32 v21, v10
	;; [unrolled: 24-line block ×4, first 2 shown]
	v_pk_mul_f32 v[6:7], v[4:5], v[6:7]
	s_nop 0
	v_pk_fma_f32 v[18:19], v[14:15], v[12:13], v[6:7]
	v_pk_fma_f32 v[6:7], v[14:15], v[12:13], v[6:7] neg_lo:[0,0,1] neg_hi:[0,0,1]
	v_pk_fma_f32 v[12:13], v[16:17], v[10:11], v[18:19]
	v_pk_fma_f32 v[14:15], v[16:17], v[10:11], v[18:19] op_sel_hi:[0,1,1] neg_lo:[1,0,0] neg_hi:[1,0,0]
	v_mov_b32_e32 v13, v15
	v_pk_fma_f32 v[6:7], v[16:17], v[10:11], v[6:7] op_sel_hi:[0,1,1] neg_lo:[1,0,0] neg_hi:[1,0,0]
	ds_write_b64 v188, v[12:13] offset:5440
	ds_write_b64 v8, v[6:7] offset:8704
	s_and_saveexec_b64 s[2:3], vcc
	s_cbranch_execz .LBB0_23
; %bb.22:
	v_add_co_u32_e32 v2, vcc, 0x1000, v2
	v_mov_b32_e32 v12, v5
	s_nop 0
	v_addc_co_u32_e32 v3, vcc, 0, v3, vcc
	global_load_dwordx2 v[2:3], v[2:3], off offset:2432
	ds_read_b64 v[6:7], v188 offset:6528
	ds_read_b64 v[10:11], v8 offset:7616
	s_waitcnt lgkmcnt(0)
	v_pk_add_f32 v[14:15], v[6:7], v[10:11]
	v_pk_add_f32 v[6:7], v[6:7], v[10:11] neg_lo:[0,1] neg_hi:[0,1]
	v_mov_b32_e32 v10, v15
	v_mov_b32_e32 v11, v6
	v_pk_mul_f32 v[10:11], v[10:11], 0.5 op_sel_hi:[1,0]
	s_waitcnt vmcnt(0)
	v_mov_b32_e32 v4, v3
	v_mov_b32_e32 v6, v11
	;; [unrolled: 1-line block ×4, first 2 shown]
	v_pk_mul_f32 v[4:5], v[4:5], v[6:7]
	s_nop 0
	v_pk_fma_f32 v[6:7], v[14:15], v[12:13], v[4:5]
	v_pk_fma_f32 v[4:5], v[14:15], v[12:13], v[4:5] neg_lo:[0,0,1] neg_hi:[0,0,1]
	v_pk_fma_f32 v[12:13], v[2:3], v[10:11], v[6:7]
	v_pk_fma_f32 v[6:7], v[2:3], v[10:11], v[6:7] op_sel_hi:[0,1,1] neg_lo:[1,0,0] neg_hi:[1,0,0]
	v_mov_b32_e32 v13, v7
	v_pk_fma_f32 v[2:3], v[2:3], v[10:11], v[4:5] op_sel_hi:[0,1,1] neg_lo:[1,0,0] neg_hi:[1,0,0]
	ds_write_b64 v188, v[12:13] offset:6528
	ds_write_b64 v8, v[2:3] offset:7616
.LBB0_23:
	s_or_b64 exec, exec, s[2:3]
	s_waitcnt lgkmcnt(0)
	s_barrier
	s_and_saveexec_b64 s[2:3], s[0:1]
	s_cbranch_execz .LBB0_26
; %bb.24:
	ds_read2_b64 v[2:5], v188 offset1:136
	v_add_u32_e32 v6, 0x800, v188
	ds_read2_b64 v[6:9], v6 offset0:16 offset1:152
	v_lshl_add_u64 v[10:11], v[0:1], 3, v[40:41]
	v_add_u32_e32 v0, 0x1000, v188
	s_waitcnt lgkmcnt(1)
	global_store_dwordx2 v[10:11], v[2:3], off
	global_store_dwordx2 v[10:11], v[4:5], off offset:1088
	s_waitcnt lgkmcnt(0)
	global_store_dwordx2 v[10:11], v[6:7], off offset:2176
	global_store_dwordx2 v[10:11], v[8:9], off offset:3264
	ds_read2_b64 v[0:3], v0 offset0:32 offset1:168
	v_add_u32_e32 v4, 0x1800, v188
	ds_read2_b64 v[4:7], v4 offset0:48 offset1:184
	v_add_co_u32_e32 v8, vcc, 0x1000, v10
	s_movk_i32 s0, 0x87
	s_nop 0
	v_addc_co_u32_e32 v9, vcc, 0, v11, vcc
	s_waitcnt lgkmcnt(1)
	global_store_dwordx2 v[8:9], v[0:1], off offset:256
	global_store_dwordx2 v[8:9], v[2:3], off offset:1344
	s_waitcnt lgkmcnt(0)
	global_store_dwordx2 v[8:9], v[4:5], off offset:2432
	global_store_dwordx2 v[8:9], v[6:7], off offset:3520
	v_add_u32_e32 v0, 0x2000, v188
	ds_read2_b64 v[0:3], v0 offset0:64 offset1:200
	v_add_u32_e32 v4, 0x2800, v188
	ds_read2_b64 v[4:7], v4 offset0:80 offset1:216
	v_add_co_u32_e32 v8, vcc, 0x2000, v10
	s_nop 1
	v_addc_co_u32_e32 v9, vcc, 0, v11, vcc
	s_waitcnt lgkmcnt(1)
	global_store_dwordx2 v[8:9], v[0:1], off offset:512
	global_store_dwordx2 v[8:9], v[2:3], off offset:1600
	s_waitcnt lgkmcnt(0)
	global_store_dwordx2 v[8:9], v[4:5], off offset:2688
	global_store_dwordx2 v[8:9], v[6:7], off offset:3776
	ds_read_b64 v[0:1], v188 offset:13056
	v_add_co_u32_e32 v2, vcc, 0x3000, v10
	s_nop 1
	v_addc_co_u32_e32 v3, vcc, 0, v11, vcc
	v_cmp_eq_u32_e32 vcc, s0, v42
	s_waitcnt lgkmcnt(0)
	global_store_dwordx2 v[2:3], v[0:1], off offset:768
	s_and_b64 exec, exec, vcc
	s_cbranch_execz .LBB0_26
; %bb.25:
	v_mov_b32_e32 v0, 0
	ds_read_b64 v[0:1], v0 offset:14144
	v_add_co_u32_e32 v2, vcc, 0x3000, v40
	s_nop 1
	v_addc_co_u32_e32 v3, vcc, 0, v41, vcc
	s_waitcnt lgkmcnt(0)
	global_store_dwordx2 v[2:3], v[0:1], off offset:1856
.LBB0_26:
	s_endpgm
	.section	.rodata,"a",@progbits
	.p2align	6, 0x0
	.amdhsa_kernel fft_rtc_back_len1768_factors_17_13_8_wgs_136_tpt_136_halfLds_sp_ip_CI_unitstride_sbrr_R2C_dirReg
		.amdhsa_group_segment_fixed_size 0
		.amdhsa_private_segment_fixed_size 0
		.amdhsa_kernarg_size 88
		.amdhsa_user_sgpr_count 2
		.amdhsa_user_sgpr_dispatch_ptr 0
		.amdhsa_user_sgpr_queue_ptr 0
		.amdhsa_user_sgpr_kernarg_segment_ptr 1
		.amdhsa_user_sgpr_dispatch_id 0
		.amdhsa_user_sgpr_kernarg_preload_length 0
		.amdhsa_user_sgpr_kernarg_preload_offset 0
		.amdhsa_user_sgpr_private_segment_size 0
		.amdhsa_uses_dynamic_stack 0
		.amdhsa_enable_private_segment 0
		.amdhsa_system_sgpr_workgroup_id_x 1
		.amdhsa_system_sgpr_workgroup_id_y 0
		.amdhsa_system_sgpr_workgroup_id_z 0
		.amdhsa_system_sgpr_workgroup_info 0
		.amdhsa_system_vgpr_workitem_id 0
		.amdhsa_next_free_vgpr 244
		.amdhsa_next_free_sgpr 46
		.amdhsa_accum_offset 244
		.amdhsa_reserve_vcc 1
		.amdhsa_float_round_mode_32 0
		.amdhsa_float_round_mode_16_64 0
		.amdhsa_float_denorm_mode_32 3
		.amdhsa_float_denorm_mode_16_64 3
		.amdhsa_dx10_clamp 1
		.amdhsa_ieee_mode 1
		.amdhsa_fp16_overflow 0
		.amdhsa_tg_split 0
		.amdhsa_exception_fp_ieee_invalid_op 0
		.amdhsa_exception_fp_denorm_src 0
		.amdhsa_exception_fp_ieee_div_zero 0
		.amdhsa_exception_fp_ieee_overflow 0
		.amdhsa_exception_fp_ieee_underflow 0
		.amdhsa_exception_fp_ieee_inexact 0
		.amdhsa_exception_int_div_zero 0
	.end_amdhsa_kernel
	.text
.Lfunc_end0:
	.size	fft_rtc_back_len1768_factors_17_13_8_wgs_136_tpt_136_halfLds_sp_ip_CI_unitstride_sbrr_R2C_dirReg, .Lfunc_end0-fft_rtc_back_len1768_factors_17_13_8_wgs_136_tpt_136_halfLds_sp_ip_CI_unitstride_sbrr_R2C_dirReg
                                        ; -- End function
	.section	.AMDGPU.csdata,"",@progbits
; Kernel info:
; codeLenInByte = 12596
; NumSgprs: 52
; NumVgprs: 244
; NumAgprs: 0
; TotalNumVgprs: 244
; ScratchSize: 0
; MemoryBound: 0
; FloatMode: 240
; IeeeMode: 1
; LDSByteSize: 0 bytes/workgroup (compile time only)
; SGPRBlocks: 6
; VGPRBlocks: 30
; NumSGPRsForWavesPerEU: 52
; NumVGPRsForWavesPerEU: 244
; AccumOffset: 244
; Occupancy: 2
; WaveLimiterHint : 1
; COMPUTE_PGM_RSRC2:SCRATCH_EN: 0
; COMPUTE_PGM_RSRC2:USER_SGPR: 2
; COMPUTE_PGM_RSRC2:TRAP_HANDLER: 0
; COMPUTE_PGM_RSRC2:TGID_X_EN: 1
; COMPUTE_PGM_RSRC2:TGID_Y_EN: 0
; COMPUTE_PGM_RSRC2:TGID_Z_EN: 0
; COMPUTE_PGM_RSRC2:TIDIG_COMP_CNT: 0
; COMPUTE_PGM_RSRC3_GFX90A:ACCUM_OFFSET: 60
; COMPUTE_PGM_RSRC3_GFX90A:TG_SPLIT: 0
	.text
	.p2alignl 6, 3212836864
	.fill 256, 4, 3212836864
	.type	__hip_cuid_54f604eca8c26037,@object ; @__hip_cuid_54f604eca8c26037
	.section	.bss,"aw",@nobits
	.globl	__hip_cuid_54f604eca8c26037
__hip_cuid_54f604eca8c26037:
	.byte	0                               ; 0x0
	.size	__hip_cuid_54f604eca8c26037, 1

	.ident	"AMD clang version 19.0.0git (https://github.com/RadeonOpenCompute/llvm-project roc-6.4.0 25133 c7fe45cf4b819c5991fe208aaa96edf142730f1d)"
	.section	".note.GNU-stack","",@progbits
	.addrsig
	.addrsig_sym __hip_cuid_54f604eca8c26037
	.amdgpu_metadata
---
amdhsa.kernels:
  - .agpr_count:     0
    .args:
      - .actual_access:  read_only
        .address_space:  global
        .offset:         0
        .size:           8
        .value_kind:     global_buffer
      - .offset:         8
        .size:           8
        .value_kind:     by_value
      - .actual_access:  read_only
        .address_space:  global
        .offset:         16
        .size:           8
        .value_kind:     global_buffer
      - .actual_access:  read_only
        .address_space:  global
        .offset:         24
        .size:           8
        .value_kind:     global_buffer
      - .offset:         32
        .size:           8
        .value_kind:     by_value
      - .actual_access:  read_only
        .address_space:  global
        .offset:         40
        .size:           8
        .value_kind:     global_buffer
      - .actual_access:  read_only
        .address_space:  global
        .offset:         48
        .size:           8
        .value_kind:     global_buffer
      - .offset:         56
        .size:           4
        .value_kind:     by_value
      - .actual_access:  read_only
        .address_space:  global
        .offset:         64
        .size:           8
        .value_kind:     global_buffer
      - .actual_access:  read_only
        .address_space:  global
        .offset:         72
        .size:           8
        .value_kind:     global_buffer
      - .address_space:  global
        .offset:         80
        .size:           8
        .value_kind:     global_buffer
    .group_segment_fixed_size: 0
    .kernarg_segment_align: 8
    .kernarg_segment_size: 88
    .language:       OpenCL C
    .language_version:
      - 2
      - 0
    .max_flat_workgroup_size: 136
    .name:           fft_rtc_back_len1768_factors_17_13_8_wgs_136_tpt_136_halfLds_sp_ip_CI_unitstride_sbrr_R2C_dirReg
    .private_segment_fixed_size: 0
    .sgpr_count:     52
    .sgpr_spill_count: 0
    .symbol:         fft_rtc_back_len1768_factors_17_13_8_wgs_136_tpt_136_halfLds_sp_ip_CI_unitstride_sbrr_R2C_dirReg.kd
    .uniform_work_group_size: 1
    .uses_dynamic_stack: false
    .vgpr_count:     244
    .vgpr_spill_count: 0
    .wavefront_size: 64
amdhsa.target:   amdgcn-amd-amdhsa--gfx950
amdhsa.version:
  - 1
  - 2
...

	.end_amdgpu_metadata
